;; amdgpu-corpus repo=ROCm/rocFFT kind=compiled arch=gfx1100 opt=O3
	.text
	.amdgcn_target "amdgcn-amd-amdhsa--gfx1100"
	.amdhsa_code_object_version 6
	.protected	fft_rtc_back_len2002_factors_2_13_7_11_wgs_182_tpt_182_halfLds_sp_ip_CI_unitstride_sbrr_dirReg ; -- Begin function fft_rtc_back_len2002_factors_2_13_7_11_wgs_182_tpt_182_halfLds_sp_ip_CI_unitstride_sbrr_dirReg
	.globl	fft_rtc_back_len2002_factors_2_13_7_11_wgs_182_tpt_182_halfLds_sp_ip_CI_unitstride_sbrr_dirReg
	.p2align	8
	.type	fft_rtc_back_len2002_factors_2_13_7_11_wgs_182_tpt_182_halfLds_sp_ip_CI_unitstride_sbrr_dirReg,@function
fft_rtc_back_len2002_factors_2_13_7_11_wgs_182_tpt_182_halfLds_sp_ip_CI_unitstride_sbrr_dirReg: ; @fft_rtc_back_len2002_factors_2_13_7_11_wgs_182_tpt_182_halfLds_sp_ip_CI_unitstride_sbrr_dirReg
; %bb.0:
	s_clause 0x2
	s_load_b128 s[4:7], s[0:1], 0x0
	s_load_b64 s[8:9], s[0:1], 0x50
	s_load_b64 s[10:11], s[0:1], 0x18
	v_mul_u32_u24_e32 v1, 0x169, v0
	v_mov_b32_e32 v3, 0
	v_mov_b32_e32 v4, 0
	s_delay_alu instid0(VALU_DEP_3) | instskip(SKIP_1) | instid1(VALU_DEP_1)
	v_lshrrev_b32_e32 v2, 16, v1
	v_mov_b32_e32 v1, 0
	v_dual_mov_b32 v6, v1 :: v_dual_add_nc_u32 v5, s15, v2
	s_waitcnt lgkmcnt(0)
	v_cmp_lt_u64_e64 s2, s[6:7], 2
	s_delay_alu instid0(VALU_DEP_1)
	s_and_b32 vcc_lo, exec_lo, s2
	s_cbranch_vccnz .LBB0_8
; %bb.1:
	s_load_b64 s[2:3], s[0:1], 0x10
	v_mov_b32_e32 v3, 0
	s_add_u32 s12, s10, 8
	v_mov_b32_e32 v4, 0
	s_addc_u32 s13, s11, 0
	s_mov_b64 s[16:17], 1
	s_waitcnt lgkmcnt(0)
	s_add_u32 s14, s2, 8
	s_addc_u32 s15, s3, 0
.LBB0_2:                                ; =>This Inner Loop Header: Depth=1
	s_load_b64 s[18:19], s[14:15], 0x0
                                        ; implicit-def: $vgpr7_vgpr8
	s_mov_b32 s2, exec_lo
	s_waitcnt lgkmcnt(0)
	v_or_b32_e32 v2, s19, v6
	s_delay_alu instid0(VALU_DEP_1)
	v_cmpx_ne_u64_e32 0, v[1:2]
	s_xor_b32 s3, exec_lo, s2
	s_cbranch_execz .LBB0_4
; %bb.3:                                ;   in Loop: Header=BB0_2 Depth=1
	v_cvt_f32_u32_e32 v2, s18
	v_cvt_f32_u32_e32 v7, s19
	s_sub_u32 s2, 0, s18
	s_subb_u32 s20, 0, s19
	s_delay_alu instid0(VALU_DEP_1) | instskip(NEXT) | instid1(VALU_DEP_1)
	v_fmac_f32_e32 v2, 0x4f800000, v7
	v_rcp_f32_e32 v2, v2
	s_waitcnt_depctr 0xfff
	v_mul_f32_e32 v2, 0x5f7ffffc, v2
	s_delay_alu instid0(VALU_DEP_1) | instskip(NEXT) | instid1(VALU_DEP_1)
	v_mul_f32_e32 v7, 0x2f800000, v2
	v_trunc_f32_e32 v7, v7
	s_delay_alu instid0(VALU_DEP_1) | instskip(SKIP_1) | instid1(VALU_DEP_2)
	v_fmac_f32_e32 v2, 0xcf800000, v7
	v_cvt_u32_f32_e32 v7, v7
	v_cvt_u32_f32_e32 v2, v2
	s_delay_alu instid0(VALU_DEP_2) | instskip(NEXT) | instid1(VALU_DEP_2)
	v_mul_lo_u32 v8, s2, v7
	v_mul_hi_u32 v9, s2, v2
	v_mul_lo_u32 v10, s20, v2
	s_delay_alu instid0(VALU_DEP_2) | instskip(SKIP_1) | instid1(VALU_DEP_2)
	v_add_nc_u32_e32 v8, v9, v8
	v_mul_lo_u32 v9, s2, v2
	v_add_nc_u32_e32 v8, v8, v10
	s_delay_alu instid0(VALU_DEP_2) | instskip(NEXT) | instid1(VALU_DEP_2)
	v_mul_hi_u32 v10, v2, v9
	v_mul_lo_u32 v11, v2, v8
	v_mul_hi_u32 v12, v2, v8
	v_mul_hi_u32 v13, v7, v9
	v_mul_lo_u32 v9, v7, v9
	v_mul_hi_u32 v14, v7, v8
	v_mul_lo_u32 v8, v7, v8
	v_add_co_u32 v10, vcc_lo, v10, v11
	v_add_co_ci_u32_e32 v11, vcc_lo, 0, v12, vcc_lo
	s_delay_alu instid0(VALU_DEP_2) | instskip(NEXT) | instid1(VALU_DEP_2)
	v_add_co_u32 v9, vcc_lo, v10, v9
	v_add_co_ci_u32_e32 v9, vcc_lo, v11, v13, vcc_lo
	v_add_co_ci_u32_e32 v10, vcc_lo, 0, v14, vcc_lo
	s_delay_alu instid0(VALU_DEP_2) | instskip(NEXT) | instid1(VALU_DEP_2)
	v_add_co_u32 v8, vcc_lo, v9, v8
	v_add_co_ci_u32_e32 v9, vcc_lo, 0, v10, vcc_lo
	s_delay_alu instid0(VALU_DEP_2) | instskip(NEXT) | instid1(VALU_DEP_2)
	v_add_co_u32 v2, vcc_lo, v2, v8
	v_add_co_ci_u32_e32 v7, vcc_lo, v7, v9, vcc_lo
	s_delay_alu instid0(VALU_DEP_2) | instskip(SKIP_1) | instid1(VALU_DEP_3)
	v_mul_hi_u32 v8, s2, v2
	v_mul_lo_u32 v10, s20, v2
	v_mul_lo_u32 v9, s2, v7
	s_delay_alu instid0(VALU_DEP_1) | instskip(SKIP_1) | instid1(VALU_DEP_2)
	v_add_nc_u32_e32 v8, v8, v9
	v_mul_lo_u32 v9, s2, v2
	v_add_nc_u32_e32 v8, v8, v10
	s_delay_alu instid0(VALU_DEP_2) | instskip(NEXT) | instid1(VALU_DEP_2)
	v_mul_hi_u32 v10, v2, v9
	v_mul_lo_u32 v11, v2, v8
	v_mul_hi_u32 v12, v2, v8
	v_mul_hi_u32 v13, v7, v9
	v_mul_lo_u32 v9, v7, v9
	v_mul_hi_u32 v14, v7, v8
	v_mul_lo_u32 v8, v7, v8
	v_add_co_u32 v10, vcc_lo, v10, v11
	v_add_co_ci_u32_e32 v11, vcc_lo, 0, v12, vcc_lo
	s_delay_alu instid0(VALU_DEP_2) | instskip(NEXT) | instid1(VALU_DEP_2)
	v_add_co_u32 v9, vcc_lo, v10, v9
	v_add_co_ci_u32_e32 v9, vcc_lo, v11, v13, vcc_lo
	v_add_co_ci_u32_e32 v10, vcc_lo, 0, v14, vcc_lo
	s_delay_alu instid0(VALU_DEP_2) | instskip(NEXT) | instid1(VALU_DEP_2)
	v_add_co_u32 v8, vcc_lo, v9, v8
	v_add_co_ci_u32_e32 v9, vcc_lo, 0, v10, vcc_lo
	s_delay_alu instid0(VALU_DEP_2) | instskip(NEXT) | instid1(VALU_DEP_2)
	v_add_co_u32 v2, vcc_lo, v2, v8
	v_add_co_ci_u32_e32 v13, vcc_lo, v7, v9, vcc_lo
	s_delay_alu instid0(VALU_DEP_2) | instskip(SKIP_1) | instid1(VALU_DEP_3)
	v_mul_hi_u32 v14, v5, v2
	v_mad_u64_u32 v[9:10], null, v6, v2, 0
	v_mad_u64_u32 v[7:8], null, v5, v13, 0
	;; [unrolled: 1-line block ×3, first 2 shown]
	s_delay_alu instid0(VALU_DEP_2) | instskip(NEXT) | instid1(VALU_DEP_3)
	v_add_co_u32 v2, vcc_lo, v14, v7
	v_add_co_ci_u32_e32 v7, vcc_lo, 0, v8, vcc_lo
	s_delay_alu instid0(VALU_DEP_2) | instskip(NEXT) | instid1(VALU_DEP_2)
	v_add_co_u32 v2, vcc_lo, v2, v9
	v_add_co_ci_u32_e32 v2, vcc_lo, v7, v10, vcc_lo
	v_add_co_ci_u32_e32 v7, vcc_lo, 0, v12, vcc_lo
	s_delay_alu instid0(VALU_DEP_2) | instskip(NEXT) | instid1(VALU_DEP_2)
	v_add_co_u32 v2, vcc_lo, v2, v11
	v_add_co_ci_u32_e32 v9, vcc_lo, 0, v7, vcc_lo
	s_delay_alu instid0(VALU_DEP_2) | instskip(SKIP_1) | instid1(VALU_DEP_3)
	v_mul_lo_u32 v10, s19, v2
	v_mad_u64_u32 v[7:8], null, s18, v2, 0
	v_mul_lo_u32 v11, s18, v9
	s_delay_alu instid0(VALU_DEP_2) | instskip(NEXT) | instid1(VALU_DEP_2)
	v_sub_co_u32 v7, vcc_lo, v5, v7
	v_add3_u32 v8, v8, v11, v10
	s_delay_alu instid0(VALU_DEP_1) | instskip(NEXT) | instid1(VALU_DEP_1)
	v_sub_nc_u32_e32 v10, v6, v8
	v_subrev_co_ci_u32_e64 v10, s2, s19, v10, vcc_lo
	v_add_co_u32 v11, s2, v2, 2
	s_delay_alu instid0(VALU_DEP_1) | instskip(SKIP_3) | instid1(VALU_DEP_3)
	v_add_co_ci_u32_e64 v12, s2, 0, v9, s2
	v_sub_co_u32 v13, s2, v7, s18
	v_sub_co_ci_u32_e32 v8, vcc_lo, v6, v8, vcc_lo
	v_subrev_co_ci_u32_e64 v10, s2, 0, v10, s2
	v_cmp_le_u32_e32 vcc_lo, s18, v13
	s_delay_alu instid0(VALU_DEP_3) | instskip(SKIP_1) | instid1(VALU_DEP_4)
	v_cmp_eq_u32_e64 s2, s19, v8
	v_cndmask_b32_e64 v13, 0, -1, vcc_lo
	v_cmp_le_u32_e32 vcc_lo, s19, v10
	v_cndmask_b32_e64 v14, 0, -1, vcc_lo
	v_cmp_le_u32_e32 vcc_lo, s18, v7
	;; [unrolled: 2-line block ×3, first 2 shown]
	v_cndmask_b32_e64 v15, 0, -1, vcc_lo
	v_cmp_eq_u32_e32 vcc_lo, s19, v10
	s_delay_alu instid0(VALU_DEP_2) | instskip(SKIP_3) | instid1(VALU_DEP_3)
	v_cndmask_b32_e64 v7, v15, v7, s2
	v_cndmask_b32_e32 v10, v14, v13, vcc_lo
	v_add_co_u32 v13, vcc_lo, v2, 1
	v_add_co_ci_u32_e32 v14, vcc_lo, 0, v9, vcc_lo
	v_cmp_ne_u32_e32 vcc_lo, 0, v10
	s_delay_alu instid0(VALU_DEP_2) | instskip(NEXT) | instid1(VALU_DEP_4)
	v_cndmask_b32_e32 v8, v14, v12, vcc_lo
	v_cndmask_b32_e32 v10, v13, v11, vcc_lo
	v_cmp_ne_u32_e32 vcc_lo, 0, v7
	s_delay_alu instid0(VALU_DEP_2)
	v_dual_cndmask_b32 v7, v2, v10 :: v_dual_cndmask_b32 v8, v9, v8
.LBB0_4:                                ;   in Loop: Header=BB0_2 Depth=1
	s_and_not1_saveexec_b32 s2, s3
	s_cbranch_execz .LBB0_6
; %bb.5:                                ;   in Loop: Header=BB0_2 Depth=1
	v_cvt_f32_u32_e32 v2, s18
	s_sub_i32 s3, 0, s18
	s_delay_alu instid0(VALU_DEP_1) | instskip(SKIP_2) | instid1(VALU_DEP_1)
	v_rcp_iflag_f32_e32 v2, v2
	s_waitcnt_depctr 0xfff
	v_mul_f32_e32 v2, 0x4f7ffffe, v2
	v_cvt_u32_f32_e32 v2, v2
	s_delay_alu instid0(VALU_DEP_1) | instskip(NEXT) | instid1(VALU_DEP_1)
	v_mul_lo_u32 v7, s3, v2
	v_mul_hi_u32 v7, v2, v7
	s_delay_alu instid0(VALU_DEP_1) | instskip(NEXT) | instid1(VALU_DEP_1)
	v_add_nc_u32_e32 v2, v2, v7
	v_mul_hi_u32 v2, v5, v2
	s_delay_alu instid0(VALU_DEP_1) | instskip(SKIP_1) | instid1(VALU_DEP_2)
	v_mul_lo_u32 v7, v2, s18
	v_add_nc_u32_e32 v8, 1, v2
	v_sub_nc_u32_e32 v7, v5, v7
	s_delay_alu instid0(VALU_DEP_1) | instskip(SKIP_1) | instid1(VALU_DEP_2)
	v_subrev_nc_u32_e32 v9, s18, v7
	v_cmp_le_u32_e32 vcc_lo, s18, v7
	v_dual_cndmask_b32 v7, v7, v9 :: v_dual_cndmask_b32 v2, v2, v8
	s_delay_alu instid0(VALU_DEP_1) | instskip(NEXT) | instid1(VALU_DEP_2)
	v_cmp_le_u32_e32 vcc_lo, s18, v7
	v_add_nc_u32_e32 v8, 1, v2
	s_delay_alu instid0(VALU_DEP_1)
	v_dual_cndmask_b32 v7, v2, v8 :: v_dual_mov_b32 v8, v1
.LBB0_6:                                ;   in Loop: Header=BB0_2 Depth=1
	s_or_b32 exec_lo, exec_lo, s2
	s_load_b64 s[2:3], s[12:13], 0x0
	s_delay_alu instid0(VALU_DEP_1) | instskip(NEXT) | instid1(VALU_DEP_2)
	v_mul_lo_u32 v2, v8, s18
	v_mul_lo_u32 v11, v7, s19
	v_mad_u64_u32 v[9:10], null, v7, s18, 0
	s_add_u32 s16, s16, 1
	s_addc_u32 s17, s17, 0
	s_add_u32 s12, s12, 8
	s_addc_u32 s13, s13, 0
	;; [unrolled: 2-line block ×3, first 2 shown]
	s_delay_alu instid0(VALU_DEP_1) | instskip(SKIP_1) | instid1(VALU_DEP_2)
	v_add3_u32 v2, v10, v11, v2
	v_sub_co_u32 v9, vcc_lo, v5, v9
	v_sub_co_ci_u32_e32 v2, vcc_lo, v6, v2, vcc_lo
	s_waitcnt lgkmcnt(0)
	s_delay_alu instid0(VALU_DEP_2) | instskip(NEXT) | instid1(VALU_DEP_2)
	v_mul_lo_u32 v10, s3, v9
	v_mul_lo_u32 v2, s2, v2
	v_mad_u64_u32 v[5:6], null, s2, v9, v[3:4]
	v_cmp_ge_u64_e64 s2, s[16:17], s[6:7]
	s_delay_alu instid0(VALU_DEP_1) | instskip(NEXT) | instid1(VALU_DEP_2)
	s_and_b32 vcc_lo, exec_lo, s2
	v_add3_u32 v4, v10, v6, v2
	s_delay_alu instid0(VALU_DEP_3)
	v_mov_b32_e32 v3, v5
	s_cbranch_vccnz .LBB0_9
; %bb.7:                                ;   in Loop: Header=BB0_2 Depth=1
	v_dual_mov_b32 v5, v7 :: v_dual_mov_b32 v6, v8
	s_branch .LBB0_2
.LBB0_8:
	v_dual_mov_b32 v8, v6 :: v_dual_mov_b32 v7, v5
.LBB0_9:
	s_lshl_b64 s[2:3], s[6:7], 3
	v_mul_hi_u32 v1, 0x1681682, v0
	s_add_u32 s2, s10, s2
	s_addc_u32 s3, s11, s3
	v_mov_b32_e32 v18, 0
	s_load_b64 s[2:3], s[2:3], 0x0
	s_load_b64 s[0:1], s[0:1], 0x20
                                        ; implicit-def: $vgpr20
                                        ; implicit-def: $vgpr34
                                        ; implicit-def: $vgpr22
                                        ; implicit-def: $vgpr26
                                        ; implicit-def: $vgpr24
                                        ; implicit-def: $vgpr30
                                        ; implicit-def: $vgpr28
                                        ; implicit-def: $vgpr36
                                        ; implicit-def: $vgpr32
                                        ; implicit-def: $vgpr38
                                        ; implicit-def: $vgpr40
	s_delay_alu instid0(VALU_DEP_2)
	v_mul_u32_u24_e32 v1, 0xb6, v1
	s_waitcnt lgkmcnt(0)
	v_mul_lo_u32 v2, s2, v8
	v_mul_lo_u32 v9, s3, v7
	v_mad_u64_u32 v[5:6], null, s2, v7, v[3:4]
	v_cmp_gt_u64_e32 vcc_lo, s[0:1], v[7:8]
	v_sub_nc_u32_e32 v3, v0, v1
	v_mov_b32_e32 v4, 0
	s_delay_alu instid0(VALU_DEP_4) | instskip(SKIP_1) | instid1(VALU_DEP_2)
	v_add3_u32 v6, v9, v6, v2
	v_mov_b32_e32 v2, 0
	v_lshlrev_b64 v[0:1], 3, v[5:6]
	s_and_saveexec_b32 s1, vcc_lo
	s_cbranch_execz .LBB0_13
; %bb.10:
	v_mov_b32_e32 v4, 0
	s_delay_alu instid0(VALU_DEP_2) | instskip(NEXT) | instid1(VALU_DEP_1)
	v_add_co_u32 v2, s0, s8, v0
	v_add_co_ci_u32_e64 v7, s0, s9, v1, s0
	s_delay_alu instid0(VALU_DEP_3) | instskip(SKIP_2) | instid1(VALU_DEP_2)
	v_lshlrev_b64 v[5:6], 3, v[3:4]
	v_mov_b32_e32 v18, v4
	s_mov_b32 s2, exec_lo
                                        ; implicit-def: $vgpr39
	v_add_co_u32 v9, s0, v2, v5
	s_delay_alu instid0(VALU_DEP_1) | instskip(NEXT) | instid1(VALU_DEP_2)
	v_add_co_ci_u32_e64 v10, s0, v7, v6, s0
	v_add_co_u32 v7, s0, 0x2000, v9
	s_delay_alu instid0(VALU_DEP_1) | instskip(SKIP_1) | instid1(VALU_DEP_1)
	v_add_co_ci_u32_e64 v8, s0, 0, v10, s0
	v_add_co_u32 v5, s0, 0x1000, v9
	v_add_co_ci_u32_e64 v6, s0, 0, v10, s0
	s_clause 0x1
	global_load_b64 v[25:26], v[7:8], off offset:1272
	global_load_b64 v[29:30], v[7:8], off offset:2728
	v_add_co_u32 v7, s0, 0x3000, v9
	s_delay_alu instid0(VALU_DEP_1)
	v_add_co_ci_u32_e64 v8, s0, 0, v10, s0
	s_clause 0x7
	global_load_b64 v[19:20], v[9:10], off
	global_load_b64 v[21:22], v[9:10], off offset:1456
	global_load_b64 v[23:24], v[9:10], off offset:2912
	;; [unrolled: 1-line block ×7, first 2 shown]
	v_cmpx_gt_u32_e32 0x5b, v3
	s_cbranch_execz .LBB0_12
; %bb.11:
	s_clause 0x1
	global_load_b64 v[17:18], v[5:6], off offset:3184
	global_load_b64 v[39:40], v[7:8], off offset:3000
	s_waitcnt vmcnt(1)
	v_mov_b32_e32 v4, v17
.LBB0_12:
	s_or_b32 exec_lo, exec_lo, s2
	v_mov_b32_e32 v2, v3
.LBB0_13:
	s_or_b32 exec_lo, exec_lo, s1
	s_waitcnt vmcnt(3)
	v_sub_f32_e32 v7, v19, v33
	v_sub_f32_e32 v17, v21, v25
	;; [unrolled: 1-line block ×3, first 2 shown]
	s_waitcnt vmcnt(0)
	v_sub_f32_e32 v15, v31, v37
	v_sub_f32_e32 v11, v4, v39
	v_lshl_add_u32 v33, v3, 3, 0
	v_sub_f32_e32 v9, v27, v35
	v_add_nc_u32_e32 v29, 0xb6, v3
	v_add_nc_u32_e32 v5, 0x38e, v3
	v_fma_f32 v6, v19, 2.0, -v7
	v_fma_f32 v16, v21, 2.0, -v17
	;; [unrolled: 1-line block ×5, first 2 shown]
	v_add_nc_u32_e32 v4, 0xa00, v33
	v_fma_f32 v8, v27, 2.0, -v9
	v_lshl_add_u32 v35, v29, 3, 0
	v_cmp_gt_u32_e64 s1, 0x5b, v3
	v_lshl_add_u32 v31, v5, 3, 0
	ds_store_b64 v33, v[6:7]
	ds_store_2addr_b64 v4, v[12:13], v[8:9] offset0:44 offset1:226
	ds_store_b64 v35, v[16:17]
	ds_store_b64 v33, v[14:15] offset:5824
	s_and_saveexec_b32 s0, s1
	s_cbranch_execz .LBB0_15
; %bb.14:
	ds_store_b64 v31, v[10:11]
.LBB0_15:
	s_or_b32 exec_lo, exec_lo, s0
	v_add_nc_u32_e32 v42, 0xb60, v33
	v_add_nc_u32_e32 v41, 0x1110, v33
	;; [unrolled: 1-line block ×3, first 2 shown]
	v_cmp_gt_u32_e64 s0, 0x9a, v3
	s_waitcnt lgkmcnt(0)
	s_barrier
	buffer_gl0_inv
                                        ; implicit-def: $vgpr37
	s_and_saveexec_b32 s2, s0
	s_cbranch_execz .LBB0_17
; %bb.16:
	v_lshlrev_b32_e32 v4, 2, v3
	s_delay_alu instid0(VALU_DEP_1) | instskip(NEXT) | instid1(VALU_DEP_1)
	v_sub_nc_u32_e32 v4, v33, v4
	v_add_nc_u32_e32 v5, 0x400, v4
	v_add_nc_u32_e32 v8, 0x900, v4
	;; [unrolled: 1-line block ×5, first 2 shown]
	ds_load_2addr_b32 v[6:7], v4 offset1:154
	ds_load_2addr_b32 v[16:17], v5 offset0:52 offset1:206
	ds_load_2addr_b32 v[12:13], v8 offset0:40 offset1:194
	ds_load_2addr_b32 v[8:9], v9 offset0:28 offset1:182
	ds_load_2addr_b32 v[14:15], v10 offset0:80 offset1:234
	ds_load_2addr_b32 v[10:11], v11 offset0:4 offset1:158
	ds_load_b32 v37, v4 offset:7392
.LBB0_17:
	s_or_b32 exec_lo, exec_lo, s2
	v_sub_f32_e32 v5, v20, v34
	v_sub_f32_e32 v27, v22, v26
	;; [unrolled: 1-line block ×6, first 2 shown]
	v_fma_f32 v4, v20, 2.0, -v5
	v_fma_f32 v26, v22, 2.0, -v27
	;; [unrolled: 1-line block ×6, first 2 shown]
	s_waitcnt lgkmcnt(0)
	s_barrier
	buffer_gl0_inv
	ds_store_b64 v33, v[4:5]
	ds_store_b64 v35, v[26:27]
	;; [unrolled: 1-line block ×5, first 2 shown]
	s_and_saveexec_b32 s2, s1
	s_cbranch_execz .LBB0_19
; %bb.18:
	ds_store_b64 v31, v[18:19]
.LBB0_19:
	s_or_b32 exec_lo, exec_lo, s2
	v_lshl_add_u32 v28, v3, 2, 0
	s_waitcnt lgkmcnt(0)
	s_barrier
	buffer_gl0_inv
                                        ; implicit-def: $vgpr38
	s_and_saveexec_b32 s1, s0
	s_cbranch_execz .LBB0_21
; %bb.20:
	v_add_nc_u32_e32 v18, 0x400, v28
	v_add_nc_u32_e32 v19, 0x900, v28
	v_add_nc_u32_e32 v20, 0xe00, v28
	v_add_nc_u32_e32 v21, 0x1200, v28
	v_add_nc_u32_e32 v30, 0x1800, v28
	ds_load_2addr_b32 v[4:5], v28 offset1:154
	ds_load_2addr_b32 v[26:27], v18 offset0:52 offset1:206
	ds_load_2addr_b32 v[24:25], v19 offset0:40 offset1:194
	ds_load_2addr_b32 v[22:23], v20 offset0:28 offset1:182
	ds_load_2addr_b32 v[20:21], v21 offset0:80 offset1:234
	ds_load_2addr_b32 v[18:19], v30 offset0:4 offset1:158
	ds_load_b32 v38, v28 offset:7392
.LBB0_21:
	s_or_b32 exec_lo, exec_lo, s1
	v_and_b32_e32 v30, 1, v3
	s_delay_alu instid0(VALU_DEP_1) | instskip(NEXT) | instid1(VALU_DEP_1)
	v_mul_u32_u24_e32 v31, 12, v30
	v_lshlrev_b32_e32 v31, 3, v31
	s_clause 0x5
	global_load_b128 v[48:51], v31, s[4:5]
	global_load_b128 v[52:55], v31, s[4:5] offset:16
	global_load_b128 v[56:59], v31, s[4:5] offset:32
	;; [unrolled: 1-line block ×5, first 2 shown]
	s_waitcnt vmcnt(0) lgkmcnt(0)
	s_barrier
	buffer_gl0_inv
	v_mul_f32_e32 v46, v5, v49
	v_dual_mul_f32 v42, v27, v53 :: v_dual_mul_f32 v39, v24, v55
	v_dual_mul_f32 v31, v7, v49 :: v_dual_mul_f32 v44, v26, v51
	;; [unrolled: 1-line block ×3, first 2 shown]
	v_mul_f32_e32 v35, v25, v57
	v_dual_mul_f32 v51, v12, v55 :: v_dual_mul_f32 v34, v23, v61
	v_dual_mul_f32 v53, v13, v57 :: v_dual_mul_f32 v36, v20, v63
	v_dual_mul_f32 v33, v22, v59 :: v_dual_fmac_f32 v46, v7, v48
	v_dual_mul_f32 v55, v8, v59 :: v_dual_fmac_f32 v42, v17, v52
	s_delay_alu instid0(VALU_DEP_4)
	v_dual_mul_f32 v59, v14, v63 :: v_dual_fmac_f32 v34, v9, v60
	v_mul_f32_e32 v45, v19, v69
	v_dual_mul_f32 v57, v9, v61 :: v_dual_fmac_f32 v44, v16, v50
	v_fma_f32 v32, v5, v48, -v31
	v_fma_f32 v31, v26, v50, -v40
	;; [unrolled: 1-line block ×5, first 2 shown]
	v_mul_f32_e32 v63, v10, v67
	v_fmac_f32_e32 v45, v11, v68
	v_mul_f32_e32 v43, v18, v67
	v_mul_f32_e32 v67, v37, v71
	v_fma_f32 v27, v27, v52, -v49
	v_fmac_f32_e32 v39, v12, v54
	v_dual_mul_f32 v41, v21, v65 :: v_dual_fmac_f32 v36, v14, v62
	s_delay_alu instid0(VALU_DEP_4) | instskip(SKIP_3) | instid1(VALU_DEP_4)
	v_fma_f32 v12, v38, v70, -v67
	v_fma_f32 v22, v22, v58, -v55
	;; [unrolled: 1-line block ×3, first 2 shown]
	v_fmac_f32_e32 v33, v8, v58
	v_sub_f32_e32 v5, v32, v12
	s_delay_alu instid0(VALU_DEP_1) | instskip(NEXT) | instid1(VALU_DEP_1)
	v_dual_mul_f32 v47, v38, v71 :: v_dual_mul_f32 v48, 0xbf52af12, v5
	v_fmac_f32_e32 v47, v37, v70
	v_mul_f32_e32 v61, v15, v65
	v_mul_f32_e32 v65, v11, v69
	v_sub_f32_e32 v11, v22, v17
	s_delay_alu instid0(VALU_DEP_4) | instskip(NEXT) | instid1(VALU_DEP_4)
	v_add_f32_e32 v60, v46, v47
	v_fma_f32 v14, v21, v64, -v61
	s_delay_alu instid0(VALU_DEP_1) | instskip(NEXT) | instid1(VALU_DEP_1)
	v_sub_f32_e32 v9, v26, v14
	v_dual_fmac_f32 v41, v15, v64 :: v_dual_mul_f32 v78, 0x3f52af12, v9
	v_dual_add_f32 v64, v44, v45 :: v_dual_fmac_f32 v43, v10, v66
	v_sub_f32_e32 v10, v24, v16
	v_fma_f32 v15, v18, v66, -v63
	s_delay_alu instid0(VALU_DEP_2) | instskip(NEXT) | instid1(VALU_DEP_2)
	v_mul_f32_e32 v38, 0x3f7e222b, v10
	v_dual_sub_f32 v8, v27, v15 :: v_dual_fmac_f32 v35, v13, v56
	v_mul_f32_e32 v76, 0xbf29c268, v5
	v_fma_f32 v13, v19, v68, -v65
	v_mul_f32_e32 v72, 0x3eedf032, v10
	s_delay_alu instid0(VALU_DEP_4)
	v_dual_mul_f32 v20, 0xbf7e222b, v8 :: v_dual_add_f32 v63, v33, v34
	v_mul_f32_e32 v52, 0xbf29c268, v11
	v_mul_f32_e32 v19, 0x3eedf032, v11
	v_dual_sub_f32 v7, v31, v13 :: v_dual_mul_f32 v68, 0x3eedf032, v8
	v_mul_f32_e32 v18, 0xbe750f2a, v11
	v_mul_f32_e32 v54, 0x3eedf032, v9
	v_dual_add_f32 v69, v39, v41 :: v_dual_mul_f32 v74, 0xbf52af12, v8
	v_mul_f32_e32 v59, 0x3f52af12, v11
	v_fma_f32 v106, 0x3f62ad3f, v63, -v19
	v_mul_f32_e32 v71, 0x3e750f2a, v9
	v_dual_add_f32 v65, v35, v36 :: v_dual_mul_f32 v58, 0x3e750f2a, v10
	v_mul_f32_e32 v53, 0xbf52af12, v10
	v_mul_f32_e32 v73, 0xbf6f5d39, v10
	s_delay_alu instid0(VALU_DEP_4)
	v_fma_f32 v97, 0xbf788fa5, v69, -v71
	v_mul_f32_e32 v75, 0x3f7e222b, v7
	v_fma_f32 v108, 0x3f116cb1, v63, -v59
	v_mul_f32_e32 v23, 0xbf29c268, v10
	;; [unrolled: 2-line block ×3, first 2 shown]
	v_mul_f32_e32 v50, 0xbe750f2a, v8
	v_add_f32_e32 v70, v42, v43
	v_fma_f32 v85, 0x3df6dbef, v64, -v75
	v_dual_add_f32 v10, v6, v10 :: v_dual_mul_f32 v37, 0xbf52af12, v7
	v_mul_f32_e32 v56, 0x3f6f5d39, v8
	s_delay_alu instid0(VALU_DEP_4) | instskip(SKIP_1) | instid1(VALU_DEP_4)
	v_fma_f32 v91, 0x3f116cb1, v70, -v74
	v_fma_f32 v100, 0x3df6dbef, v65, -v38
	v_dual_add_f32 v10, v85, v10 :: v_dual_mul_f32 v55, 0xbe750f2a, v7
	v_mul_f32_e32 v79, 0xbf29c268, v8
	v_fma_f32 v8, 0x3df6dbef, v60, -v61
	s_delay_alu instid0(VALU_DEP_3) | instskip(NEXT) | instid1(VALU_DEP_4)
	v_dual_mul_f32 v25, 0xbeedf032, v5 :: v_dual_add_f32 v10, v91, v10
	v_fma_f32 v83, 0xbf788fa5, v64, -v55
	v_fma_f32 v89, 0xbeb58ec6, v70, -v56
	s_delay_alu instid0(VALU_DEP_4) | instskip(SKIP_3) | instid1(VALU_DEP_4)
	v_dual_add_f32 v8, v6, v8 :: v_dual_mul_f32 v81, 0xbe750f2a, v5
	v_mul_f32_e32 v66, 0xbf6f5d39, v5
	v_mul_f32_e32 v80, 0x3eedf032, v7
	v_fma_f32 v95, 0x3f62ad3f, v69, -v54
	v_dual_add_f32 v8, v83, v8 :: v_dual_mul_f32 v49, 0xbf6f5d39, v7
	v_dual_mul_f32 v21, 0xbf6f5d39, v9 :: v_dual_mul_f32 v62, 0xbf6f5d39, v11
	v_fma_f32 v101, 0x3f116cb1, v65, -v53
	s_delay_alu instid0(VALU_DEP_3) | instskip(SKIP_3) | instid1(VALU_DEP_4)
	v_dual_add_f32 v8, v89, v8 :: v_dual_mul_f32 v67, 0x3f29c268, v7
	v_fma_f32 v7, 0x3f116cb1, v60, -v48
	v_fma_f32 v82, 0xbeb58ec6, v64, -v49
	;; [unrolled: 1-line block ×3, first 2 shown]
	v_dual_add_f32 v8, v95, v8 :: v_dual_mul_f32 v51, 0x3f29c268, v9
	s_delay_alu instid0(VALU_DEP_4)
	v_dual_add_f32 v7, v6, v7 :: v_dual_add_f32 v10, v97, v10
	v_mul_f32_e32 v57, 0xbf7e222b, v9
	v_fma_f32 v9, 0xbeb58ec6, v60, -v66
	v_fma_f32 v84, 0xbf3f9e67, v64, -v67
	;; [unrolled: 1-line block ×3, first 2 shown]
	v_add_f32_e32 v7, v82, v7
	v_mul_f32_e32 v77, 0x3f7e222b, v11
	v_add_f32_e32 v9, v6, v9
	v_fma_f32 v5, 0x3f62ad3f, v60, -v25
	v_fma_f32 v11, 0xbf788fa5, v60, -v81
	;; [unrolled: 1-line block ×3, first 2 shown]
	v_add_f32_e32 v7, v88, v7
	v_dual_add_f32 v9, v84, v9 :: v_dual_add_f32 v84, v103, v10
	v_add_f32_e32 v82, v101, v8
	v_fma_f32 v94, 0xbf3f9e67, v69, -v51
	v_fma_f32 v40, 0x3f116cb1, v64, -v37
	v_fma_f32 v86, 0x3f62ad3f, v64, -v80
	v_fma_f32 v96, 0x3df6dbef, v69, -v57
	v_add_f32_e32 v5, v6, v5
	v_add_f32_e32 v11, v6, v11
	;; [unrolled: 1-line block ×4, first 2 shown]
	v_fma_f32 v87, 0x3df6dbef, v70, -v20
	v_fma_f32 v102, 0xbf788fa5, v65, -v58
	v_add_f32_e32 v5, v40, v5
	v_add_f32_e32 v11, v86, v11
	;; [unrolled: 1-line block ×4, first 2 shown]
	v_fma_f32 v92, 0xbf3f9e67, v70, -v79
	v_fma_f32 v93, 0xbeb58ec6, v69, -v21
	;; [unrolled: 1-line block ×3, first 2 shown]
	v_add_f32_e32 v5, v87, v5
	v_add_f32_e32 v83, v102, v9
	;; [unrolled: 1-line block ×3, first 2 shown]
	v_fma_f32 v104, 0xbeb58ec6, v65, -v73
	v_fma_f32 v105, 0xbf788fa5, v63, -v18
	s_delay_alu instid0(VALU_DEP_4)
	v_dual_add_f32 v5, v93, v5 :: v_dual_add_f32 v10, v108, v83
	v_fma_f32 v99, 0xbf3f9e67, v65, -v23
	v_add_f32_e32 v11, v98, v11
	v_fma_f32 v107, 0xbf3f9e67, v63, -v52
	v_fma_f32 v109, 0xbeb58ec6, v63, -v62
	v_fma_f32 v110, 0x3df6dbef, v63, -v77
	v_add_f32_e32 v5, v99, v5
	v_dual_add_f32 v85, v104, v11 :: v_dual_add_f32 v8, v106, v40
	v_add_f32_e32 v9, v107, v82
	v_add_f32_e32 v11, v109, v84
	s_delay_alu instid0(VALU_DEP_4) | instskip(NEXT) | instid1(VALU_DEP_4)
	v_add_f32_e32 v7, v105, v5
	v_add_f32_e32 v5, v110, v85
	v_lshrrev_b32_e32 v40, 1, v3
	s_and_saveexec_b32 s1, s0
	s_cbranch_execz .LBB0_23
; %bb.22:
	v_dual_mul_f32 v86, 0xbf3f9e67, v60 :: v_dual_mul_f32 v101, 0xbf3f9e67, v65
	v_dual_mul_f32 v82, 0x3f62ad3f, v60 :: v_dual_mul_f32 v95, 0x3f62ad3f, v70
	;; [unrolled: 1-line block ×3, first 2 shown]
	v_mul_f32_e32 v84, 0x3df6dbef, v60
	v_dual_mul_f32 v85, 0xbeb58ec6, v60 :: v_dual_mul_f32 v94, 0xbeb58ec6, v70
	v_dual_mul_f32 v60, 0xbf788fa5, v60 :: v_dual_mul_f32 v93, 0xbf788fa5, v70
	;; [unrolled: 1-line block ×3, first 2 shown]
	v_add_f32_e32 v76, v86, v76
	s_delay_alu instid0(VALU_DEP_3)
	v_dual_mul_f32 v87, 0x3f116cb1, v64 :: v_dual_add_f32 v60, v60, v81
	v_dual_mul_f32 v88, 0xbeb58ec6, v64 :: v_dual_mul_f32 v97, 0xbeb58ec6, v69
	v_dual_mul_f32 v89, 0xbf788fa5, v64 :: v_dual_mul_f32 v100, 0xbf788fa5, v69
	v_dual_mul_f32 v90, 0xbf3f9e67, v64 :: v_dual_add_f32 v75, v91, v75
	v_dual_mul_f32 v64, 0x3f62ad3f, v64 :: v_dual_mul_f32 v99, 0x3f62ad3f, v69
	v_add_f32_e32 v76, v6, v76
	v_mul_f32_e32 v70, 0xbf3f9e67, v70
	v_mul_f32_e32 v98, 0xbf3f9e67, v69
	;; [unrolled: 1-line block ×3, first 2 shown]
	v_dual_mul_f32 v69, 0x3f116cb1, v69 :: v_dual_add_f32 v60, v6, v60
	v_add_f32_e32 v64, v64, v80
	v_dual_add_f32 v75, v75, v76 :: v_dual_mul_f32 v76, 0x3f116cb1, v63
	v_dual_add_f32 v61, v84, v61 :: v_dual_add_f32 v66, v85, v66
	v_dual_mul_f32 v102, 0x3f116cb1, v65 :: v_dual_add_f32 v71, v100, v71
	v_dual_mul_f32 v86, 0xbf788fa5, v65 :: v_dual_add_f32 v67, v90, v67
	v_dual_add_f32 v60, v64, v60 :: v_dual_mul_f32 v91, 0x3f62ad3f, v63
	v_add_f32_e32 v74, v96, v74
	v_mul_f32_e32 v80, 0x3df6dbef, v65
	v_add_f32_e32 v57, v81, v57
	v_add_f32_e32 v61, v6, v61
	;; [unrolled: 1-line block ×3, first 2 shown]
	v_mul_f32_e32 v64, 0x3f62ad3f, v65
	v_dual_mul_f32 v65, 0xbeb58ec6, v65 :: v_dual_add_f32 v70, v70, v79
	v_add_f32_e32 v69, v69, v78
	v_dual_add_f32 v55, v89, v55 :: v_dual_add_f32 v58, v86, v58
	s_delay_alu instid0(VALU_DEP_3) | instskip(NEXT) | instid1(VALU_DEP_2)
	v_dual_add_f32 v65, v65, v73 :: v_dual_add_f32 v60, v70, v60
	v_dual_mul_f32 v78, 0xbeb58ec6, v63 :: v_dual_add_f32 v55, v55, v61
	v_add_f32_e32 v48, v83, v48
	v_dual_add_f32 v56, v94, v56 :: v_dual_add_f32 v49, v88, v49
	s_delay_alu instid0(VALU_DEP_4) | instskip(NEXT) | instid1(VALU_DEP_2)
	v_dual_add_f32 v60, v69, v60 :: v_dual_add_f32 v25, v82, v25
	v_dual_add_f32 v48, v6, v48 :: v_dual_add_f32 v55, v56, v55
	s_delay_alu instid0(VALU_DEP_2)
	v_dual_mul_f32 v79, 0xbf788fa5, v63 :: v_dual_add_f32 v60, v65, v60
	v_add_f32_e32 v65, v67, v66
	v_dual_add_f32 v66, v95, v68 :: v_dual_add_f32 v67, v6, v46
	v_add_f32_e32 v62, v78, v62
	v_mul_f32_e32 v70, 0xbf3f9e67, v63
	v_mul_f32_e32 v63, 0x3df6dbef, v63
	s_delay_alu instid0(VALU_DEP_4) | instskip(SKIP_2) | instid1(VALU_DEP_3)
	v_add_f32_e32 v65, v66, v65
	v_dual_add_f32 v69, v74, v75 :: v_dual_add_f32 v64, v64, v72
	v_add_f32_e32 v66, v67, v44
	v_dual_add_f32 v38, v80, v38 :: v_dual_add_f32 v57, v57, v65
	s_delay_alu instid0(VALU_DEP_3) | instskip(SKIP_1) | instid1(VALU_DEP_3)
	v_dual_add_f32 v69, v71, v69 :: v_dual_add_f32 v48, v49, v48
	v_add_f32_e32 v49, v93, v50
	v_dual_add_f32 v54, v99, v54 :: v_dual_add_f32 v57, v58, v57
	s_delay_alu instid0(VALU_DEP_3) | instskip(SKIP_1) | instid1(VALU_DEP_4)
	v_add_f32_e32 v64, v64, v69
	v_add_f32_e32 v58, v76, v59
	v_dual_add_f32 v48, v49, v48 :: v_dual_add_f32 v19, v91, v19
	v_add_f32_e32 v49, v98, v51
	s_delay_alu instid0(VALU_DEP_4) | instskip(SKIP_4) | instid1(VALU_DEP_4)
	v_add_f32_e32 v62, v62, v64
	v_add_f32_e32 v64, v66, v42
	;; [unrolled: 1-line block ×5, first 2 shown]
	v_dual_add_f32 v18, v79, v18 :: v_dual_add_f32 v59, v64, v39
	s_delay_alu instid0(VALU_DEP_3) | instskip(NEXT) | instid1(VALU_DEP_2)
	v_add_f32_e32 v6, v25, v6
	v_add_f32_e32 v56, v59, v35
	s_delay_alu instid0(VALU_DEP_1) | instskip(NEXT) | instid1(VALU_DEP_1)
	v_add_f32_e32 v37, v56, v33
	v_add_f32_e32 v25, v37, v34
	;; [unrolled: 1-line block ×3, first 2 shown]
	s_delay_alu instid0(VALU_DEP_2) | instskip(NEXT) | instid1(VALU_DEP_1)
	v_dual_add_f32 v25, v25, v36 :: v_dual_add_f32 v54, v54, v55
	v_dual_add_f32 v25, v25, v41 :: v_dual_add_f32 v20, v92, v20
	s_delay_alu instid0(VALU_DEP_1) | instskip(SKIP_1) | instid1(VALU_DEP_4)
	v_dual_add_f32 v25, v25, v43 :: v_dual_add_f32 v6, v20, v6
	v_add_f32_e32 v20, v97, v21
	v_add_f32_e32 v21, v37, v54
	;; [unrolled: 1-line block ×3, first 2 shown]
	v_mul_u32_u24_e32 v48, 26, v40
	s_delay_alu instid0(VALU_DEP_4) | instskip(SKIP_1) | instid1(VALU_DEP_4)
	v_add_f32_e32 v6, v20, v6
	v_dual_add_f32 v20, v101, v23 :: v_dual_add_f32 v23, v70, v52
	v_add_f32_e32 v37, v38, v37
	s_delay_alu instid0(VALU_DEP_2) | instskip(NEXT) | instid1(VALU_DEP_3)
	v_add_f32_e32 v21, v23, v21
	v_dual_add_f32 v23, v58, v57 :: v_dual_add_f32 v6, v20, v6
	v_add_f32_e32 v20, v25, v45
	v_or_b32_e32 v25, v48, v30
	s_delay_alu instid0(VALU_DEP_3) | instskip(NEXT) | instid1(VALU_DEP_3)
	v_dual_add_f32 v19, v19, v37 :: v_dual_add_f32 v6, v18, v6
	v_add_f32_e32 v18, v20, v47
	s_delay_alu instid0(VALU_DEP_3)
	v_lshl_add_u32 v20, v25, 2, 0
	v_add_f32_e32 v25, v63, v60
	ds_store_2addr_b32 v20, v18, v6 offset1:2
	ds_store_2addr_b32 v20, v19, v21 offset0:4 offset1:6
	ds_store_2addr_b32 v20, v23, v62 offset0:8 offset1:10
	ds_store_2addr_b32 v20, v25, v5 offset0:12 offset1:14
	ds_store_2addr_b32 v20, v11, v10 offset0:16 offset1:18
	ds_store_2addr_b32 v20, v9, v8 offset0:20 offset1:22
	ds_store_b32 v20, v7 offset:96
.LBB0_23:
	s_or_b32 exec_lo, exec_lo, s1
	s_waitcnt lgkmcnt(0)
	s_barrier
	buffer_gl0_inv
	ds_load_b32 v6, v28
	ds_load_b32 v38, v28 offset:1144
	ds_load_b32 v37, v28 offset:2288
	;; [unrolled: 1-line block ×6, first 2 shown]
	v_cmp_gt_u32_e64 s1, 0x68, v3
                                        ; implicit-def: $vgpr18
	s_delay_alu instid0(VALU_DEP_1)
	s_and_saveexec_b32 s2, s1
	s_cbranch_execz .LBB0_25
; %bb.24:
	ds_load_b32 v5, v28 offset:728
	ds_load_b32 v11, v28 offset:1872
	;; [unrolled: 1-line block ×7, first 2 shown]
.LBB0_25:
	s_or_b32 exec_lo, exec_lo, s2
	v_dual_add_f32 v19, v32, v12 :: v_dual_sub_f32 v58, v46, v47
	v_add_f32_e32 v55, v31, v13
	s_waitcnt lgkmcnt(0)
	s_barrier
	s_delay_alu instid0(VALU_DEP_2) | instskip(SKIP_4) | instid1(VALU_DEP_4)
	v_mul_f32_e32 v50, 0x3f116cb1, v19
	v_mul_f32_e32 v51, 0x3f62ad3f, v19
	v_dual_mul_f32 v46, 0xbf788fa5, v19 :: v_dual_sub_f32 v71, v44, v45
	v_mul_f32_e32 v44, 0x3f116cb1, v55
	v_mul_f32_e32 v45, 0xbf788fa5, v55
	v_fmamk_f32 v52, v58, 0xbeedf032, v51
	v_fmamk_f32 v53, v58, 0xbf52af12, v50
	buffer_gl0_inv
	v_sub_f32_e32 v80, v39, v41
	v_fmamk_f32 v64, v71, 0xbe750f2a, v45
	v_add_f32_e32 v56, v4, v52
	v_fmamk_f32 v62, v71, 0xbf52af12, v44
	v_mul_f32_e32 v47, 0xbf3f9e67, v19
	v_dual_sub_f32 v79, v42, v43 :: v_dual_sub_f32 v82, v33, v34
	v_sub_f32_e32 v81, v35, v36
	s_delay_alu instid0(VALU_DEP_4) | instskip(NEXT) | instid1(VALU_DEP_4)
	v_add_f32_e32 v62, v62, v56
	v_fmamk_f32 v52, v58, 0xbf29c268, v47
	s_delay_alu instid0(VALU_DEP_1) | instskip(NEXT) | instid1(VALU_DEP_1)
	v_dual_mul_f32 v49, 0x3df6dbef, v19 :: v_dual_add_f32 v60, v4, v52
	v_fmamk_f32 v54, v58, 0xbf7e222b, v49
	s_delay_alu instid0(VALU_DEP_1) | instskip(NEXT) | instid1(VALU_DEP_1)
	v_add_f32_e32 v59, v4, v54
	v_add_f32_e32 v59, v64, v59
	;; [unrolled: 1-line block ×3, first 2 shown]
	v_dual_mul_f32 v48, 0xbeb58ec6, v19 :: v_dual_add_f32 v57, v4, v53
	v_fmamk_f32 v53, v58, 0xbe750f2a, v46
	v_mul_f32_e32 v54, 0x3df6dbef, v55
	s_delay_alu instid0(VALU_DEP_4) | instskip(NEXT) | instid1(VALU_DEP_4)
	v_mul_f32_e32 v42, 0xbf788fa5, v64
	v_fmamk_f32 v19, v58, 0xbf6f5d39, v48
	v_mul_f32_e32 v43, 0xbeb58ec6, v64
	v_add_f32_e32 v61, v4, v53
	v_mul_f32_e32 v53, 0xbeb58ec6, v55
	v_fmamk_f32 v65, v71, 0x3f7e222b, v54
	v_mul_f32_e32 v52, 0xbf3f9e67, v55
	v_add_f32_e32 v19, v4, v19
	v_fmamk_f32 v67, v79, 0xbe750f2a, v42
	v_fmamk_f32 v63, v71, 0xbf6f5d39, v53
	s_delay_alu instid0(VALU_DEP_4) | instskip(NEXT) | instid1(VALU_DEP_2)
	v_dual_add_f32 v65, v65, v60 :: v_dual_fmamk_f32 v56, v71, 0x3f29c268, v52
	v_add_f32_e32 v63, v63, v57
	v_mul_f32_e32 v57, 0x3f62ad3f, v55
	s_delay_alu instid0(VALU_DEP_3) | instskip(SKIP_2) | instid1(VALU_DEP_4)
	v_dual_add_f32 v19, v56, v19 :: v_dual_mul_f32 v56, 0x3f62ad3f, v64
	v_mul_f32_e32 v55, 0x3df6dbef, v64
	v_fmamk_f32 v68, v79, 0x3f6f5d39, v43
	v_fmamk_f32 v60, v71, 0x3eedf032, v57
	v_add_f32_e32 v63, v67, v63
	s_delay_alu instid0(VALU_DEP_3) | instskip(NEXT) | instid1(VALU_DEP_3)
	v_dual_add_f32 v67, v68, v59 :: v_dual_fmamk_f32 v66, v79, 0xbf7e222b, v55
	v_add_f32_e32 v69, v60, v61
	v_dual_mul_f32 v61, 0xbf3f9e67, v64 :: v_dual_add_f32 v68, v26, v14
	s_delay_alu instid0(VALU_DEP_3) | instskip(SKIP_1) | instid1(VALU_DEP_3)
	v_add_f32_e32 v66, v66, v62
	v_mul_f32_e32 v62, 0x3f116cb1, v64
	v_fmamk_f32 v64, v79, 0xbf29c268, v61
	v_fmamk_f32 v60, v79, 0x3eedf032, v56
	v_mul_f32_e32 v59, 0xbf3f9e67, v68
	s_delay_alu instid0(VALU_DEP_4) | instskip(NEXT) | instid1(VALU_DEP_4)
	v_fmamk_f32 v39, v79, 0xbf52af12, v62
	v_add_f32_e32 v69, v64, v69
	s_delay_alu instid0(VALU_DEP_4) | instskip(NEXT) | instid1(VALU_DEP_3)
	v_dual_add_f32 v19, v60, v19 :: v_dual_mul_f32 v60, 0x3f62ad3f, v68
	v_dual_fmamk_f32 v72, v80, 0x3f29c268, v59 :: v_dual_add_f32 v39, v39, v65
	s_delay_alu instid0(VALU_DEP_2) | instskip(NEXT) | instid1(VALU_DEP_2)
	v_fmamk_f32 v73, v80, 0x3eedf032, v60
	v_add_f32_e32 v72, v72, v63
	s_delay_alu instid0(VALU_DEP_2) | instskip(SKIP_1) | instid1(VALU_DEP_2)
	v_dual_add_f32 v74, v73, v67 :: v_dual_add_f32 v73, v24, v16
	v_mul_f32_e32 v41, 0xbeb58ec6, v68
	v_mul_f32_e32 v65, 0x3df6dbef, v73
	;; [unrolled: 1-line block ×3, first 2 shown]
	s_delay_alu instid0(VALU_DEP_2) | instskip(NEXT) | instid1(VALU_DEP_1)
	v_fmamk_f32 v76, v81, 0x3f7e222b, v65
	v_dual_fmamk_f32 v34, v81, 0x3e750f2a, v77 :: v_dual_add_f32 v83, v76, v72
	v_mul_f32_e32 v67, 0x3df6dbef, v68
	v_mul_f32_e32 v72, 0xbeb58ec6, v73
	s_delay_alu instid0(VALU_DEP_2) | instskip(NEXT) | instid1(VALU_DEP_1)
	v_dual_add_f32 v76, v22, v17 :: v_dual_fmamk_f32 v35, v80, 0xbf7e222b, v67
	v_dual_fmamk_f32 v70, v80, 0xbf6f5d39, v41 :: v_dual_add_f32 v19, v35, v19
	s_delay_alu instid0(VALU_DEP_1) | instskip(NEXT) | instid1(VALU_DEP_2)
	v_add_f32_e32 v70, v70, v66
	v_dual_mul_f32 v66, 0xbf788fa5, v68 :: v_dual_add_f32 v19, v34, v19
	v_mul_f32_e32 v63, 0xbf3f9e67, v73
	s_delay_alu instid0(VALU_DEP_2) | instskip(NEXT) | instid1(VALU_DEP_2)
	v_fmamk_f32 v36, v80, 0x3e750f2a, v66
	v_fmamk_f32 v75, v81, 0xbf29c268, v63
	s_delay_alu instid0(VALU_DEP_2) | instskip(NEXT) | instid1(VALU_DEP_1)
	v_dual_mul_f32 v64, 0x3f116cb1, v68 :: v_dual_add_f32 v35, v36, v39
	v_dual_add_f32 v39, v75, v70 :: v_dual_fmamk_f32 v68, v80, 0x3f52af12, v64
	v_mul_f32_e32 v75, 0x3f62ad3f, v73
	s_delay_alu instid0(VALU_DEP_2) | instskip(SKIP_2) | instid1(VALU_DEP_2)
	v_add_f32_e32 v36, v68, v69
	v_mul_f32_e32 v68, 0x3f116cb1, v73
	v_mul_f32_e32 v73, 0xbf788fa5, v76
	v_fmamk_f32 v33, v81, 0xbf52af12, v68
	s_delay_alu instid0(VALU_DEP_2) | instskip(NEXT) | instid1(VALU_DEP_1)
	v_fmamk_f32 v78, v82, 0xbe750f2a, v73
	v_dual_add_f32 v84, v33, v74 :: v_dual_add_f32 v33, v78, v39
	v_mul_f32_e32 v78, 0x3f62ad3f, v76
	v_fmamk_f32 v69, v81, 0x3eedf032, v75
	v_mul_f32_e32 v74, 0xbeb58ec6, v76
	s_delay_alu instid0(VALU_DEP_2) | instskip(NEXT) | instid1(VALU_DEP_2)
	v_dual_fmamk_f32 v34, v82, 0x3eedf032, v78 :: v_dual_add_f32 v85, v69, v35
	v_fmamk_f32 v39, v82, 0xbf6f5d39, v74
	v_fmamk_f32 v70, v81, 0xbf6f5d39, v72
	s_delay_alu instid0(VALU_DEP_3) | instskip(NEXT) | instid1(VALU_DEP_2)
	v_dual_mul_f32 v69, 0xbf3f9e67, v76 :: v_dual_add_f32 v34, v34, v83
	v_dual_add_f32 v39, v39, v85 :: v_dual_add_f32 v86, v70, v36
	v_mul_f32_e32 v70, 0x3f116cb1, v76
	v_mul_f32_e32 v76, 0x3df6dbef, v76
	s_delay_alu instid0(VALU_DEP_4) | instskip(NEXT) | instid1(VALU_DEP_3)
	v_fmamk_f32 v35, v82, 0xbf29c268, v69
	v_fmamk_f32 v36, v82, 0x3f52af12, v70
	s_delay_alu instid0(VALU_DEP_3) | instskip(NEXT) | instid1(VALU_DEP_2)
	v_fmamk_f32 v87, v82, 0x3f7e222b, v76
	v_dual_add_f32 v35, v35, v84 :: v_dual_add_f32 v36, v36, v19
	s_delay_alu instid0(VALU_DEP_2)
	v_add_f32_e32 v19, v87, v86
	s_and_saveexec_b32 s2, s0
	s_cbranch_execz .LBB0_27
; %bb.26:
	v_dual_add_f32 v32, v4, v32 :: v_dual_mul_f32 v83, 0xbeedf032, v58
	v_mul_f32_e32 v84, 0xbf52af12, v58
	v_dual_mul_f32 v93, 0x3eedf032, v79 :: v_dual_mul_f32 v102, 0x3eedf032, v82
	s_delay_alu instid0(VALU_DEP_3) | instskip(SKIP_1) | instid1(VALU_DEP_4)
	v_dual_add_f32 v31, v32, v31 :: v_dual_mul_f32 v86, 0xbf6f5d39, v58
	v_mul_f32_e32 v32, 0xbf29c268, v58
	v_dual_mul_f32 v101, 0xbe750f2a, v82 :: v_dual_sub_f32 v50, v50, v84
	s_delay_alu instid0(VALU_DEP_3) | instskip(SKIP_3) | instid1(VALU_DEP_4)
	v_add_f32_e32 v27, v31, v27
	v_mul_f32_e32 v87, 0xbf52af12, v71
	v_mul_f32_e32 v94, 0xbf6f5d39, v80
	v_dual_mul_f32 v97, 0x3e750f2a, v80 :: v_dual_mul_f32 v100, 0x3e750f2a, v81
	v_add_f32_e32 v26, v27, v26
	v_mul_f32_e32 v85, 0xbf7e222b, v58
	v_dual_mul_f32 v58, 0xbe750f2a, v58 :: v_dual_mul_f32 v31, 0xbe750f2a, v71
	v_dual_mul_f32 v27, 0xbf7e222b, v79 :: v_dual_mul_f32 v96, 0xbf7e222b, v80
	s_delay_alu instid0(VALU_DEP_4) | instskip(NEXT) | instid1(VALU_DEP_4)
	v_dual_add_f32 v24, v26, v24 :: v_dual_mul_f32 v89, 0x3f29c268, v71
	v_dual_mul_f32 v90, 0x3f7e222b, v71 :: v_dual_sub_f32 v49, v49, v85
	v_dual_mul_f32 v26, 0xbf52af12, v79 :: v_dual_mul_f32 v99, 0xbf52af12, v81
	s_delay_alu instid0(VALU_DEP_3) | instskip(SKIP_2) | instid1(VALU_DEP_3)
	v_add_f32_e32 v22, v24, v22
	v_mul_f32_e32 v88, 0xbf6f5d39, v71
	v_dual_mul_f32 v71, 0x3eedf032, v71 :: v_dual_mul_f32 v24, 0x3eedf032, v80
	v_dual_sub_f32 v48, v48, v86 :: v_dual_add_f32 v17, v22, v17
	v_mul_f32_e32 v91, 0xbe750f2a, v79
	v_mul_f32_e32 v22, 0xbf29c268, v81
	s_delay_alu instid0(VALU_DEP_4) | instskip(NEXT) | instid1(VALU_DEP_4)
	v_dual_mul_f32 v103, 0x3f52af12, v82 :: v_dual_sub_f32 v24, v60, v24
	v_add_f32_e32 v16, v17, v16
	v_mul_f32_e32 v95, 0x3f29c268, v80
	v_mul_f32_e32 v80, 0x3f52af12, v80
	v_sub_f32_e32 v42, v42, v91
	s_delay_alu instid0(VALU_DEP_4) | instskip(SKIP_2) | instid1(VALU_DEP_3)
	v_dual_sub_f32 v27, v55, v27 :: v_dual_add_f32 v14, v16, v14
	v_dual_mul_f32 v17, 0x3eedf032, v81 :: v_dual_sub_f32 v44, v44, v87
	v_mul_f32_e32 v16, 0xbf29c268, v82
	v_add_f32_e32 v14, v14, v15
	v_mul_f32_e32 v92, 0x3f6f5d39, v79
	v_sub_f32_e32 v15, v51, v83
	v_mul_f32_e32 v79, 0xbf29c268, v79
	v_mul_f32_e32 v98, 0x3f7e222b, v81
	v_dual_add_f32 v13, v14, v13 :: v_dual_sub_f32 v14, v47, v32
	s_delay_alu instid0(VALU_DEP_4) | instskip(SKIP_1) | instid1(VALU_DEP_3)
	v_dual_add_f32 v15, v4, v15 :: v_dual_mul_f32 v104, 0xbf6f5d39, v82
	v_mul_f32_e32 v82, 0x3f7e222b, v82
	v_dual_add_f32 v12, v13, v12 :: v_dual_sub_f32 v13, v46, v58
	v_add_f32_e32 v47, v4, v49
	v_add_f32_e32 v32, v4, v50
	;; [unrolled: 1-line block ×3, first 2 shown]
	v_sub_f32_e32 v48, v53, v88
	v_add_f32_e32 v14, v4, v14
	v_add_f32_e32 v4, v4, v13
	;; [unrolled: 1-line block ×3, first 2 shown]
	v_dual_sub_f32 v15, v45, v31 :: v_dual_sub_f32 v44, v54, v90
	v_mul_f32_e32 v81, 0xbf6f5d39, v81
	v_sub_f32_e32 v45, v57, v71
	s_delay_alu instid0(VALU_DEP_4) | instskip(NEXT) | instid1(VALU_DEP_4)
	v_add_f32_e32 v13, v27, v13
	v_add_f32_e32 v15, v15, v47
	v_sub_f32_e32 v27, v43, v92
	v_sub_f32_e32 v43, v56, v93
	v_add_f32_e32 v31, v48, v32
	v_sub_f32_e32 v32, v52, v89
	s_delay_alu instid0(VALU_DEP_4) | instskip(SKIP_1) | instid1(VALU_DEP_4)
	v_dual_add_f32 v14, v44, v14 :: v_dual_add_f32 v15, v27, v15
	v_sub_f32_e32 v26, v62, v26
	v_dual_add_f32 v31, v42, v31 :: v_dual_sub_f32 v22, v63, v22
	s_delay_alu instid0(VALU_DEP_3) | instskip(NEXT) | instid1(VALU_DEP_3)
	v_dual_sub_f32 v16, v69, v16 :: v_dual_add_f32 v15, v24, v15
	v_add_f32_e32 v14, v26, v14
	v_dual_sub_f32 v26, v41, v94 :: v_dual_sub_f32 v41, v67, v96
	v_dual_add_f32 v32, v32, v46 :: v_dual_sub_f32 v17, v75, v17
	s_delay_alu instid0(VALU_DEP_2) | instskip(NEXT) | instid1(VALU_DEP_2)
	v_dual_add_f32 v13, v26, v13 :: v_dual_sub_f32 v42, v61, v79
	v_add_f32_e32 v27, v43, v32
	v_sub_f32_e32 v32, v59, v95
	s_delay_alu instid0(VALU_DEP_3) | instskip(NEXT) | instid1(VALU_DEP_3)
	v_dual_add_f32 v4, v45, v4 :: v_dual_add_f32 v13, v22, v13
	v_add_f32_e32 v24, v41, v27
	s_delay_alu instid0(VALU_DEP_2) | instskip(SKIP_1) | instid1(VALU_DEP_1)
	v_dual_add_f32 v31, v32, v31 :: v_dual_add_f32 v4, v42, v4
	v_sub_f32_e32 v27, v64, v80
	v_add_f32_e32 v4, v27, v4
	v_sub_f32_e32 v27, v77, v100
	s_delay_alu instid0(VALU_DEP_1) | instskip(SKIP_1) | instid1(VALU_DEP_1)
	v_add_f32_e32 v24, v27, v24
	v_dual_sub_f32 v32, v68, v99 :: v_dual_sub_f32 v27, v73, v101
	v_dual_add_f32 v15, v32, v15 :: v_dual_sub_f32 v26, v66, v97
	s_delay_alu instid0(VALU_DEP_2) | instskip(SKIP_1) | instid1(VALU_DEP_3)
	v_add_f32_e32 v13, v27, v13
	v_sub_f32_e32 v27, v74, v104
	v_dual_add_f32 v15, v16, v15 :: v_dual_add_f32 v14, v26, v14
	v_sub_f32_e32 v26, v65, v98
	s_delay_alu instid0(VALU_DEP_2) | instskip(SKIP_1) | instid1(VALU_DEP_3)
	v_add_f32_e32 v14, v17, v14
	v_mul_u32_u24_e32 v17, 26, v40
	v_add_f32_e32 v22, v26, v31
	v_dual_sub_f32 v26, v72, v81 :: v_dual_sub_f32 v31, v78, v102
	s_delay_alu instid0(VALU_DEP_4) | instskip(NEXT) | instid1(VALU_DEP_4)
	v_add_f32_e32 v14, v27, v14
	v_or_b32_e32 v17, v17, v30
	v_sub_f32_e32 v30, v76, v82
	s_delay_alu instid0(VALU_DEP_4) | instskip(SKIP_3) | instid1(VALU_DEP_4)
	v_add_f32_e32 v4, v26, v4
	v_sub_f32_e32 v26, v70, v103
	v_add_f32_e32 v22, v31, v22
	v_lshl_add_u32 v16, v17, 2, 0
	v_add_f32_e32 v4, v30, v4
	s_delay_alu instid0(VALU_DEP_4)
	v_add_f32_e32 v17, v26, v24
	ds_store_2addr_b32 v16, v12, v13 offset1:2
	ds_store_2addr_b32 v16, v22, v15 offset0:4 offset1:6
	ds_store_2addr_b32 v16, v17, v14 offset0:8 offset1:10
	;; [unrolled: 1-line block ×5, first 2 shown]
	ds_store_b32 v16, v33 offset:96
.LBB0_27:
	s_or_b32 exec_lo, exec_lo, s2
	s_waitcnt lgkmcnt(0)
	s_barrier
	buffer_gl0_inv
	ds_load_b32 v4, v28
	ds_load_b32 v41, v28 offset:1144
	ds_load_b32 v40, v28 offset:2288
	;; [unrolled: 1-line block ×6, first 2 shown]
                                        ; implicit-def: $vgpr12
	s_and_saveexec_b32 s0, s1
	s_cbranch_execz .LBB0_29
; %bb.28:
	ds_load_b32 v19, v28 offset:728
	ds_load_b32 v39, v28 offset:1872
	;; [unrolled: 1-line block ×7, first 2 shown]
.LBB0_29:
	s_or_b32 exec_lo, exec_lo, s0
	v_and_b32_e32 v17, 0xff, v3
	s_delay_alu instid0(VALU_DEP_1) | instskip(NEXT) | instid1(VALU_DEP_1)
	v_mul_lo_u16 v17, 0x4f, v17
	v_lshrrev_b16 v17, 11, v17
	s_delay_alu instid0(VALU_DEP_1) | instskip(NEXT) | instid1(VALU_DEP_1)
	v_mul_lo_u16 v24, v17, 26
	v_sub_nc_u16 v24, v3, v24
	s_delay_alu instid0(VALU_DEP_1) | instskip(NEXT) | instid1(VALU_DEP_1)
	v_and_b32_e32 v24, 0xff, v24
	v_mul_u32_u24_e32 v27, 6, v24
	s_delay_alu instid0(VALU_DEP_1)
	v_lshlrev_b32_e32 v27, 3, v27
	s_clause 0x1
	global_load_b128 v[48:51], v27, s[4:5] offset:192
	global_load_b128 v[52:55], v27, s[4:5] offset:208
	v_and_b32_e32 v22, 0xffff, v29
	s_waitcnt vmcnt(1) lgkmcnt(4)
	v_dual_mul_f32 v42, v40, v51 :: v_dual_and_b32 v17, 0xffff, v17
	v_mul_f32_e32 v51, v37, v51
	s_delay_alu instid0(VALU_DEP_3)
	v_mul_u32_u24_e32 v22, 0x4ec5, v22
	v_dual_mul_f32 v43, v41, v49 :: v_dual_lshlrev_b32 v24, 2, v24
	s_waitcnt vmcnt(0) lgkmcnt(3)
	v_mul_f32_e32 v44, v16, v53
	v_mul_f32_e32 v53, v25, v53
	v_lshrrev_b32_e32 v22, 19, v22
	s_waitcnt lgkmcnt(2)
	v_dual_mul_f32 v45, v15, v55 :: v_dual_fmac_f32 v42, v37, v50
	v_fma_f32 v37, v40, v50, -v51
	v_dual_mul_f32 v55, v23, v55 :: v_dual_fmac_f32 v44, v25, v52
	v_mul_lo_u16 v26, v22, 26
	v_fmac_f32_e32 v43, v38, v48
	v_fmac_f32_e32 v45, v23, v54
	v_fma_f32 v16, v16, v52, -v53
	v_fma_f32 v15, v15, v54, -v55
	v_sub_nc_u16 v26, v29, v26
	v_mul_lo_u16 v22, 0xb6, v22
	s_delay_alu instid0(VALU_DEP_2) | instskip(NEXT) | instid1(VALU_DEP_1)
	v_dual_mul_f32 v49, v38, v49 :: v_dual_and_b32 v26, 0xffff, v26
	v_fma_f32 v38, v41, v48, -v49
	s_delay_alu instid0(VALU_DEP_2) | instskip(NEXT) | instid1(VALU_DEP_1)
	v_mul_u32_u24_e32 v29, 6, v26
	v_lshlrev_b32_e32 v29, 3, v29
	s_clause 0x3
	global_load_b128 v[56:59], v27, s[4:5] offset:224
	global_load_b128 v[60:63], v29, s[4:5] offset:192
	;; [unrolled: 1-line block ×4, first 2 shown]
	v_mul_u32_u24_e32 v27, 0x2d8, v17
	v_lshlrev_b32_e32 v17, 2, v26
	s_waitcnt vmcnt(0) lgkmcnt(0)
	s_barrier
	buffer_gl0_inv
	v_add3_u32 v24, 0, v27, v24
	v_mul_f32_e32 v46, v14, v57
	v_dual_mul_f32 v57, v21, v57 :: v_dual_mul_f32 v26, v36, v63
	v_mul_f32_e32 v32, v12, v71
	v_mul_f32_e32 v47, v13, v59
	v_dual_mul_f32 v30, v34, v67 :: v_dual_mul_f32 v27, v39, v61
	s_delay_alu instid0(VALU_DEP_4)
	v_fma_f32 v14, v14, v56, -v57
	v_dual_mul_f32 v59, v20, v59 :: v_dual_fmac_f32 v46, v21, v56
	v_dual_mul_f32 v61, v11, v61 :: v_dual_fmac_f32 v26, v10, v62
	v_fmac_f32_e32 v47, v20, v58
	v_dual_fmac_f32 v30, v8, v66 :: v_dual_fmac_f32 v27, v11, v60
	v_sub_f32_e32 v11, v37, v14
	v_mul_f32_e32 v31, v33, v69
	v_dual_mul_f32 v63, v10, v63 :: v_dual_add_f32 v10, v44, v45
	v_mul_f32_e32 v67, v8, v67
	v_mul_f32_e32 v69, v7, v69
	s_delay_alu instid0(VALU_DEP_4)
	v_fmac_f32_e32 v31, v7, v68
	v_dual_add_f32 v7, v43, v47 :: v_dual_add_f32 v8, v42, v46
	v_mul_f32_e32 v29, v35, v65
	v_mul_f32_e32 v65, v9, v65
	v_fma_f32 v25, v34, v66, -v67
	v_sub_f32_e32 v34, v15, v16
	v_fma_f32 v23, v36, v62, -v63
	v_sub_f32_e32 v36, v8, v7
	v_fma_f32 v20, v35, v64, -v65
	v_add_f32_e32 v35, v8, v7
	v_dual_sub_f32 v7, v7, v10 :: v_dual_sub_f32 v8, v10, v8
	v_fma_f32 v13, v13, v58, -v59
	v_dual_fmac_f32 v29, v9, v64 :: v_dual_fmac_f32 v32, v18, v70
	s_delay_alu instid0(VALU_DEP_4) | instskip(NEXT) | instid1(VALU_DEP_4)
	v_add_f32_e32 v10, v10, v35
	v_mul_f32_e32 v7, 0x3f4a47b2, v7
	v_mul_f32_e32 v35, 0x3d64c772, v8
	;; [unrolled: 1-line block ×3, first 2 shown]
	v_fma_f32 v21, v39, v60, -v61
	s_delay_alu instid0(VALU_DEP_4) | instskip(NEXT) | instid1(VALU_DEP_4)
	v_dual_add_f32 v41, v6, v10 :: v_dual_fmamk_f32 v6, v8, 0x3d64c772, v7
	v_fma_f32 v8, 0x3f3bfb3b, v36, -v35
	v_add_f32_e32 v39, v34, v11
	v_sub_f32_e32 v40, v34, v11
	s_delay_alu instid0(VALU_DEP_4) | instskip(SKIP_1) | instid1(VALU_DEP_2)
	v_fmamk_f32 v10, v10, 0xbf955555, v41
	v_fma_f32 v7, 0xbf3bfb3b, v36, -v7
	v_dual_add_f32 v8, v8, v10 :: v_dual_sub_f32 v9, v38, v13
	s_delay_alu instid0(VALU_DEP_2) | instskip(NEXT) | instid1(VALU_DEP_2)
	v_add_f32_e32 v7, v7, v10
	v_dual_sub_f32 v11, v11, v9 :: v_dual_sub_f32 v34, v9, v34
	v_add_f32_e32 v9, v39, v9
	v_mul_f32_e32 v39, 0x3f08b237, v40
	s_delay_alu instid0(VALU_DEP_3) | instskip(NEXT) | instid1(VALU_DEP_2)
	v_mul_f32_e32 v40, 0xbf5ff5aa, v11
	v_fmamk_f32 v35, v34, 0xbeae86e6, v39
	v_fma_f32 v11, 0xbf5ff5aa, v11, -v39
	s_delay_alu instid0(VALU_DEP_3) | instskip(NEXT) | instid1(VALU_DEP_3)
	v_fma_f32 v34, 0x3eae86e6, v34, -v40
	v_fmac_f32_e32 v35, 0xbee1c552, v9
	s_delay_alu instid0(VALU_DEP_3) | instskip(NEXT) | instid1(VALU_DEP_3)
	v_fmac_f32_e32 v11, 0xbee1c552, v9
	v_dual_fmac_f32 v34, 0xbee1c552, v9 :: v_dual_add_f32 v9, v6, v10
	v_fma_f32 v6, v33, v68, -v69
	s_delay_alu instid0(VALU_DEP_3) | instskip(NEXT) | instid1(VALU_DEP_3)
	v_dual_sub_f32 v33, v8, v11 :: v_dual_add_f32 v8, v11, v8
	v_add_f32_e32 v10, v35, v9
	s_delay_alu instid0(VALU_DEP_4)
	v_dual_add_f32 v18, v34, v7 :: v_dual_sub_f32 v11, v7, v34
	v_fma_f32 v7, v12, v70, -v71
	v_sub_f32_e32 v9, v9, v35
	ds_store_2addr_b32 v24, v41, v10 offset1:26
	ds_store_2addr_b32 v24, v18, v33 offset0:52 offset1:78
	ds_store_2addr_b32 v24, v8, v11 offset0:104 offset1:130
	ds_store_b32 v24, v9 offset:624
	s_and_saveexec_b32 s0, s1
	s_cbranch_execz .LBB0_31
; %bb.30:
	v_dual_add_f32 v8, v27, v32 :: v_dual_add_f32 v9, v26, v31
	v_add_f32_e32 v10, v29, v30
	v_sub_f32_e32 v11, v21, v7
	v_dual_sub_f32 v12, v25, v20 :: v_dual_sub_f32 v33, v23, v6
	s_delay_alu instid0(VALU_DEP_3) | instskip(SKIP_1) | instid1(VALU_DEP_3)
	v_dual_add_f32 v18, v9, v8 :: v_dual_sub_f32 v35, v10, v9
	v_sub_f32_e32 v34, v8, v10
	v_sub_f32_e32 v36, v11, v12
	s_delay_alu instid0(VALU_DEP_2) | instskip(NEXT) | instid1(VALU_DEP_1)
	v_dual_sub_f32 v8, v9, v8 :: v_dual_mul_f32 v9, 0x3f4a47b2, v34
	v_dual_mul_f32 v34, 0x3d64c772, v35 :: v_dual_fmamk_f32 v35, v35, 0x3d64c772, v9
	v_add_f32_e32 v10, v10, v18
	v_sub_f32_e32 v18, v12, v33
	v_dual_add_f32 v12, v12, v33 :: v_dual_sub_f32 v33, v33, v11
	s_delay_alu instid0(VALU_DEP_3) | instskip(NEXT) | instid1(VALU_DEP_2)
	v_add_f32_e32 v5, v5, v10
	v_mul_f32_e32 v39, 0xbf5ff5aa, v33
	v_fma_f32 v9, 0xbf3bfb3b, v8, -v9
	s_delay_alu instid0(VALU_DEP_3) | instskip(NEXT) | instid1(VALU_DEP_1)
	v_fmamk_f32 v10, v10, 0xbf955555, v5
	v_add_f32_e32 v35, v35, v10
	v_dual_mul_f32 v18, 0x3f08b237, v18 :: v_dual_add_f32 v11, v12, v11
	s_delay_alu instid0(VALU_DEP_4) | instskip(SKIP_1) | instid1(VALU_DEP_3)
	v_add_f32_e32 v9, v9, v10
	v_fma_f32 v8, 0x3f3bfb3b, v8, -v34
	v_fmamk_f32 v12, v36, 0xbeae86e6, v18
	v_fma_f32 v36, 0x3eae86e6, v36, -v39
	v_fma_f32 v18, 0xbf5ff5aa, v33, -v18
	s_delay_alu instid0(VALU_DEP_3) | instskip(SKIP_1) | instid1(VALU_DEP_3)
	v_fmac_f32_e32 v12, 0xbee1c552, v11
	v_and_b32_e32 v33, 0xffff, v22
	v_fmac_f32_e32 v18, 0xbee1c552, v11
	v_fmac_f32_e32 v36, 0xbee1c552, v11
	s_delay_alu instid0(VALU_DEP_4) | instskip(SKIP_1) | instid1(VALU_DEP_3)
	v_add_f32_e32 v34, v12, v35
	v_sub_f32_e32 v12, v35, v12
	v_dual_sub_f32 v11, v9, v36 :: v_dual_add_f32 v8, v8, v10
	s_delay_alu instid0(VALU_DEP_1) | instskip(NEXT) | instid1(VALU_DEP_1)
	v_dual_sub_f32 v33, v8, v18 :: v_dual_lshlrev_b32 v10, 2, v33
	v_add3_u32 v10, 0, v17, v10
	v_dual_add_f32 v9, v36, v9 :: v_dual_add_f32 v8, v18, v8
	ds_store_2addr_b32 v10, v5, v34 offset1:26
	ds_store_2addr_b32 v10, v9, v33 offset0:52 offset1:78
	ds_store_2addr_b32 v10, v8, v11 offset0:104 offset1:130
	ds_store_b32 v10, v12 offset:624
.LBB0_31:
	s_or_b32 exec_lo, exec_lo, s0
	v_dual_add_f32 v5, v38, v13 :: v_dual_add_f32 v8, v37, v14
	v_dual_sub_f32 v9, v43, v47 :: v_dual_sub_f32 v12, v45, v44
	v_dual_add_f32 v10, v16, v15 :: v_dual_sub_f32 v11, v42, v46
	s_delay_alu instid0(VALU_DEP_3) | instskip(SKIP_2) | instid1(VALU_DEP_3)
	v_add_f32_e32 v13, v8, v5
	v_sub_f32_e32 v14, v8, v5
	s_waitcnt lgkmcnt(0)
	v_dual_sub_f32 v5, v5, v10 :: v_dual_sub_f32 v8, v10, v8
	s_delay_alu instid0(VALU_DEP_3) | instskip(SKIP_2) | instid1(VALU_DEP_2)
	v_dual_add_f32 v15, v12, v11 :: v_dual_add_f32 v10, v10, v13
	v_dual_sub_f32 v13, v12, v11 :: v_dual_sub_f32 v12, v9, v12
	s_barrier
	v_dual_add_f32 v18, v15, v9 :: v_dual_add_f32 v33, v4, v10
	v_sub_f32_e32 v11, v11, v9
	buffer_gl0_inv
	v_fmamk_f32 v34, v10, 0xbf955555, v33
	v_mul_f32_e32 v4, 0x3f4a47b2, v5
	v_mul_f32_e32 v5, 0x3d64c772, v8
	v_add_nc_u32_e32 v10, 0x1000, v28
	s_delay_alu instid0(VALU_DEP_3) | instskip(NEXT) | instid1(VALU_DEP_3)
	v_fmamk_f32 v8, v8, 0x3d64c772, v4
	v_fma_f32 v5, 0x3f3bfb3b, v14, -v5
	v_mul_f32_e32 v9, 0x3f08b237, v13
	s_delay_alu instid0(VALU_DEP_3) | instskip(NEXT) | instid1(VALU_DEP_3)
	v_add_f32_e32 v39, v8, v34
	v_add_f32_e32 v40, v5, v34
	v_fma_f32 v35, 0xbf3bfb3b, v14, -v4
	v_mul_f32_e32 v13, 0xbf5ff5aa, v11
	v_fma_f32 v37, 0xbf5ff5aa, v11, -v9
	v_add_nc_u32_e32 v14, 0x1600, v28
	s_delay_alu instid0(VALU_DEP_4) | instskip(NEXT) | instid1(VALU_DEP_4)
	v_add_f32_e32 v34, v35, v34
	v_fma_f32 v38, 0x3eae86e6, v12, -v13
	s_delay_alu instid0(VALU_DEP_4) | instskip(NEXT) | instid1(VALU_DEP_2)
	v_fmac_f32_e32 v37, 0xbee1c552, v18
	v_fmac_f32_e32 v38, 0xbee1c552, v18
	s_delay_alu instid0(VALU_DEP_2) | instskip(SKIP_1) | instid1(VALU_DEP_3)
	v_dual_fmamk_f32 v36, v12, 0xbeae86e6, v9 :: v_dual_add_f32 v41, v37, v40
	v_add_nc_u32_e32 v9, 0xb00, v28
	v_sub_f32_e32 v35, v34, v38
	v_add_f32_e32 v34, v38, v34
	s_delay_alu instid0(VALU_DEP_4) | instskip(NEXT) | instid1(VALU_DEP_1)
	v_fmac_f32_e32 v36, 0xbee1c552, v18
	v_sub_f32_e32 v18, v39, v36
	v_dual_sub_f32 v37, v40, v37 :: v_dual_add_nc_u32 v8, 0x500, v28
	ds_load_2addr_b32 v[4:5], v28 offset1:182
	ds_load_2addr_b32 v[12:13], v8 offset0:44 offset1:226
	ds_load_2addr_b32 v[8:9], v9 offset0:24 offset1:206
	ds_load_2addr_b32 v[10:11], v10 offset0:68 offset1:250
	ds_load_2addr_b32 v[14:15], v14 offset0:48 offset1:230
	ds_load_b32 v16, v28 offset:7280
	v_add_f32_e32 v36, v36, v39
	s_waitcnt lgkmcnt(0)
	s_barrier
	buffer_gl0_inv
	ds_store_2addr_b32 v24, v33, v18 offset1:26
	ds_store_2addr_b32 v24, v35, v41 offset0:52 offset1:78
	ds_store_2addr_b32 v24, v37, v34 offset0:104 offset1:130
	ds_store_b32 v24, v36 offset:624
	s_and_saveexec_b32 s0, s1
	s_cbranch_execz .LBB0_33
; %bb.32:
	v_dual_add_f32 v7, v21, v7 :: v_dual_add_f32 v6, v23, v6
	v_dual_sub_f32 v18, v27, v32 :: v_dual_sub_f32 v21, v26, v31
	v_add_f32_e32 v20, v20, v25
	v_sub_f32_e32 v23, v30, v29
	s_delay_alu instid0(VALU_DEP_4) | instskip(SKIP_1) | instid1(VALU_DEP_4)
	v_add_f32_e32 v24, v6, v7
	v_dual_sub_f32 v25, v6, v7 :: v_dual_and_b32 v22, 0xffff, v22
	v_dual_sub_f32 v7, v7, v20 :: v_dual_sub_f32 v6, v20, v6
	s_delay_alu instid0(VALU_DEP_4) | instskip(NEXT) | instid1(VALU_DEP_4)
	v_add_f32_e32 v26, v23, v21
	v_add_f32_e32 v20, v20, v24
	s_delay_alu instid0(VALU_DEP_3) | instskip(SKIP_2) | instid1(VALU_DEP_4)
	v_dual_sub_f32 v24, v23, v21 :: v_dual_mul_f32 v7, 0x3f4a47b2, v7
	v_sub_f32_e32 v23, v18, v23
	v_sub_f32_e32 v21, v21, v18
	v_dual_add_f32 v18, v26, v18 :: v_dual_add_f32 v19, v19, v20
	s_delay_alu instid0(VALU_DEP_1) | instskip(SKIP_3) | instid1(VALU_DEP_2)
	v_fmamk_f32 v20, v20, 0xbf955555, v19
	v_mul_f32_e32 v26, 0x3d64c772, v6
	v_fmamk_f32 v6, v6, 0x3d64c772, v7
	v_fma_f32 v7, 0xbf3bfb3b, v25, -v7
	v_dual_mul_f32 v27, 0xbf5ff5aa, v21 :: v_dual_add_f32 v6, v6, v20
	s_delay_alu instid0(VALU_DEP_2) | instskip(SKIP_2) | instid1(VALU_DEP_2)
	v_add_f32_e32 v7, v7, v20
	v_mul_f32_e32 v24, 0x3f08b237, v24
	v_fma_f32 v26, 0x3f3bfb3b, v25, -v26
	v_fmamk_f32 v25, v23, 0xbeae86e6, v24
	v_fma_f32 v21, 0xbf5ff5aa, v21, -v24
	s_delay_alu instid0(VALU_DEP_3) | instskip(SKIP_1) | instid1(VALU_DEP_3)
	v_add_f32_e32 v24, v26, v20
	v_fma_f32 v23, 0x3eae86e6, v23, -v27
	v_fmac_f32_e32 v21, 0xbee1c552, v18
	s_delay_alu instid0(VALU_DEP_2) | instskip(SKIP_2) | instid1(VALU_DEP_4)
	v_fmac_f32_e32 v23, 0xbee1c552, v18
	v_fmac_f32_e32 v25, 0xbee1c552, v18
	v_lshlrev_b32_e32 v18, 2, v22
	v_add_f32_e32 v26, v21, v24
	s_delay_alu instid0(VALU_DEP_4) | instskip(NEXT) | instid1(VALU_DEP_4)
	v_sub_f32_e32 v22, v7, v23
	v_sub_f32_e32 v20, v6, v25
	s_delay_alu instid0(VALU_DEP_4)
	v_add3_u32 v17, 0, v17, v18
	v_dual_sub_f32 v18, v24, v21 :: v_dual_add_f32 v7, v23, v7
	v_add_f32_e32 v6, v25, v6
	ds_store_2addr_b32 v17, v19, v20 offset1:26
	ds_store_2addr_b32 v17, v22, v26 offset0:52 offset1:78
	ds_store_2addr_b32 v17, v18, v7 offset0:104 offset1:130
	ds_store_b32 v17, v6 offset:624
.LBB0_33:
	s_or_b32 exec_lo, exec_lo, s0
	s_waitcnt lgkmcnt(0)
	s_barrier
	buffer_gl0_inv
	s_and_saveexec_b32 s0, vcc_lo
	s_cbranch_execz .LBB0_35
; %bb.34:
	v_mul_u32_u24_e32 v3, 10, v3
	v_add_nc_u32_e32 v26, 0x1600, v28
	v_add_co_u32 v44, vcc_lo, s8, v0
	v_add_co_ci_u32_e32 v45, vcc_lo, s9, v1, vcc_lo
	s_delay_alu instid0(VALU_DEP_4)
	v_lshlrev_b32_e32 v3, 3, v3
	s_clause 0x4
	global_load_b128 v[17:20], v3, s[4:5] offset:1440
	global_load_b128 v[21:24], v3, s[4:5] offset:1504
	;; [unrolled: 1-line block ×5, first 2 shown]
	v_add_nc_u32_e32 v25, 0x500, v28
	v_mov_b32_e32 v3, 0
	v_add_nc_u32_e32 v27, 0xb00, v28
	v_add_nc_u32_e32 v41, 0x1000, v28
	ds_load_2addr_b32 v[6:7], v28 offset1:182
	ds_load_b32 v43, v28 offset:7280
	v_lshlrev_b64 v[0:1], 3, v[2:3]
	s_delay_alu instid0(VALU_DEP_1) | instskip(NEXT) | instid1(VALU_DEP_2)
	v_add_co_u32 v0, vcc_lo, v44, v0
	v_add_co_ci_u32_e32 v1, vcc_lo, v45, v1, vcc_lo
	s_waitcnt vmcnt(4)
	v_mul_f32_e32 v46, v12, v19
	v_mul_f32_e32 v44, v5, v17
	s_waitcnt vmcnt(2)
	v_mul_f32_e32 v50, v8, v31
	v_mul_f32_e32 v48, v13, v29
	ds_load_2addr_b32 v[2:3], v25 offset0:44 offset1:226
	ds_load_2addr_b32 v[25:26], v26 offset0:48 offset1:230
	;; [unrolled: 1-line block ×4, first 2 shown]
	v_mul_f32_e32 v45, v16, v23
	s_waitcnt vmcnt(0)
	v_dual_mul_f32 v49, v14, v35 :: v_dual_mul_f32 v52, v9, v37
	v_dual_mul_f32 v16, v16, v24 :: v_dual_mul_f32 v5, v5, v18
	;; [unrolled: 1-line block ×5, first 2 shown]
	v_mul_f32_e32 v51, v11, v33
	s_waitcnt lgkmcnt(5)
	v_dual_mul_f32 v53, v10, v39 :: v_dual_fmac_f32 v44, v7, v18
	v_dual_mul_f32 v10, v10, v40 :: v_dual_mul_f32 v9, v9, v38
	s_waitcnt lgkmcnt(4)
	v_fmac_f32_e32 v45, v43, v24
	v_fma_f32 v43, v43, v23, -v16
	s_waitcnt lgkmcnt(1)
	v_fmac_f32_e32 v52, v28, v38
	v_mul_f32_e32 v11, v11, v34
	v_fma_f32 v5, v7, v17, -v5
	v_fmac_f32_e32 v46, v2, v20
	v_fmac_f32_e32 v47, v26, v22
	v_dual_fmac_f32 v48, v3, v30 :: v_dual_fmac_f32 v49, v25, v36
	v_fma_f32 v22, v25, v35, -v14
	v_fma_f32 v3, v3, v29, -v13
	v_fmac_f32_e32 v50, v27, v32
	v_fma_f32 v7, v27, v31, -v8
	s_waitcnt lgkmcnt(0)
	v_fma_f32 v8, v41, v39, -v10
	v_fma_f32 v9, v28, v37, -v9
	v_sub_f32_e32 v10, v44, v45
	v_fma_f32 v11, v42, v33, -v11
	v_fmac_f32_e32 v51, v42, v34
	v_fma_f32 v24, v26, v21, -v15
	v_fma_f32 v2, v2, v19, -v12
	v_dual_fmac_f32 v53, v41, v40 :: v_dual_add_f32 v16, v3, v22
	v_add_f32_e32 v12, v5, v43
	v_dual_sub_f32 v13, v46, v47 :: v_dual_add_f32 v20, v9, v8
	v_add_f32_e32 v18, v7, v11
	v_dual_sub_f32 v17, v50, v51 :: v_dual_sub_f32 v28, v3, v22
	v_dual_add_f32 v21, v44, v45 :: v_dual_sub_f32 v30, v7, v11
	v_dual_sub_f32 v23, v5, v43 :: v_dual_mul_f32 v34, 0xbf0a6770, v10
	v_dual_add_f32 v25, v46, v47 :: v_dual_sub_f32 v32, v9, v8
	v_add_f32_e32 v5, v5, v6
	s_delay_alu instid0(VALU_DEP_4) | instskip(NEXT) | instid1(VALU_DEP_4)
	v_dual_add_f32 v33, v4, v44 :: v_dual_mul_f32 v42, 0xbf4178ce, v30
	v_dual_mul_f32 v73, 0xbf4178ce, v10 :: v_dual_mul_f32 v78, 0xbf4178ce, v23
	v_dual_add_f32 v14, v2, v24 :: v_dual_sub_f32 v15, v48, v49
	v_dual_sub_f32 v19, v52, v53 :: v_dual_sub_f32 v26, v2, v24
	v_dual_mul_f32 v35, 0xbf68dda4, v13 :: v_dual_mul_f32 v54, 0xbf68dda4, v10
	v_dual_mul_f32 v41, 0xbf7d64f0, v28 :: v_dual_mul_f32 v64, 0xbf7d64f0, v10
	v_mul_f32_e32 v44, 0xbe903f40, v32
	v_dual_mul_f32 v59, 0xbf68dda4, v23 :: v_dual_add_f32 v2, v5, v2
	v_dual_mul_f32 v67, 0xbf0a6770, v17 :: v_dual_mul_f32 v80, 0xbf0a6770, v28
	v_mul_f32_e32 v10, 0xbe903f40, v10
	v_dual_add_f32 v5, v33, v46 :: v_dual_fmamk_f32 v46, v14, 0x3ed4b147, v35
	s_delay_alu instid0(VALU_DEP_3)
	v_dual_fmamk_f32 v33, v12, 0x3f575c64, v34 :: v_dual_fmamk_f32 v102, v18, 0x3f575c64, v67
	v_fmamk_f32 v108, v12, 0xbf27a4f4, v73
	v_fma_f32 v73, 0xbf27a4f4, v12, -v73
	v_dual_add_f32 v27, v48, v49 :: v_dual_mul_f32 v36, 0xbf7d64f0, v15
	v_dual_mul_f32 v39, 0xbf0a6770, v23 :: v_dual_mul_f32 v72, 0xbf0a6770, v30
	v_dual_mul_f32 v55, 0xbf4178ce, v13 :: v_dual_mul_f32 v68, 0xbf4178ce, v19
	;; [unrolled: 1-line block ×5, first 2 shown]
	v_dual_fmamk_f32 v90, v12, 0x3ed4b147, v54 :: v_dual_add_f32 v33, v6, v33
	v_mul_f32_e32 v69, 0xbf7d64f0, v23
	v_mul_f32_e32 v23, 0xbe903f40, v23
	v_dual_fmamk_f32 v113, v12, 0xbf75a155, v10 :: v_dual_add_f32 v2, v2, v3
	v_fma_f32 v10, 0xbf75a155, v12, -v10
	v_fma_f32 v54, 0x3ed4b147, v12, -v54
	v_fmamk_f32 v99, v12, 0xbe11bafb, v64
	v_fma_f32 v64, 0xbe11bafb, v12, -v64
	v_fma_f32 v12, 0x3f575c64, v12, -v34
	v_add_f32_e32 v73, v6, v73
	v_dual_add_f32 v54, v6, v54 :: v_dual_mul_f32 v75, 0xbf0a6770, v15
	v_add_f32_e32 v108, v6, v108
	v_dual_add_f32 v29, v50, v51 :: v_dual_mul_f32 v40, 0xbf68dda4, v26
	v_dual_add_f32 v31, v52, v53 :: v_dual_mul_f32 v38, 0xbe903f40, v19
	v_dual_mul_f32 v37, 0xbf4178ce, v17 :: v_dual_mul_f32 v60, 0xbf4178ce, v26
	v_dual_mul_f32 v57, 0x3f7d64f0, v17 :: v_dual_mul_f32 v62, 0x3f7d64f0, v30
	;; [unrolled: 1-line block ×9, first 2 shown]
	v_dual_mul_f32 v19, 0xbf7d64f0, v19 :: v_dual_add_f32 v10, v6, v10
	v_dual_fmamk_f32 v83, v16, 0xbe11bafb, v36 :: v_dual_add_f32 v64, v6, v64
	v_fma_f32 v86, 0x3f575c64, v21, -v39
	v_fmamk_f32 v91, v14, 0xbf27a4f4, v55
	v_dual_fmamk_f32 v92, v16, 0xbf75a155, v56 :: v_dual_add_f32 v99, v6, v99
	v_dual_fmamk_f32 v94, v20, 0x3f575c64, v58 :: v_dual_add_f32 v113, v6, v113
	v_fma_f32 v95, 0x3ed4b147, v21, -v59
	v_dual_fmamk_f32 v101, v16, 0x3ed4b147, v66 :: v_dual_add_f32 v12, v6, v12
	v_dual_fmamk_f32 v110, v16, 0x3f575c64, v75 :: v_dual_add_f32 v3, v5, v48
	v_fma_f32 v34, 0xbf27a4f4, v21, -v78
	v_add_f32_e32 v90, v6, v90
	v_fma_f32 v104, 0xbe11bafb, v21, -v69
	v_fma_f32 v6, 0xbf75a155, v21, -v23
	v_fmac_f32_e32 v78, 0xbf27a4f4, v21
	v_fmac_f32_e32 v23, 0xbf75a155, v21
	v_dual_fmac_f32 v69, 0xbe11bafb, v21 :: v_dual_add_f32 v50, v3, v50
	v_fmac_f32_e32 v59, 0x3ed4b147, v21
	v_fmac_f32_e32 v39, 0x3f575c64, v21
	v_dual_fmamk_f32 v84, v18, 0xbf27a4f4, v37 :: v_dual_fmamk_f32 v103, v20, 0xbf27a4f4, v68
	v_dual_fmamk_f32 v85, v20, 0xbf75a155, v38 :: v_dual_fmamk_f32 v100, v14, 0xbf75a155, v65
	v_fma_f32 v87, 0x3ed4b147, v25, -v40
	v_fma_f32 v88, 0xbe11bafb, v27, -v41
	v_fma_f32 v89, 0xbf27a4f4, v29, -v42
	v_dual_fmamk_f32 v93, v18, 0xbe11bafb, v57 :: v_dual_add_f32 v86, v4, v86
	v_fma_f32 v96, 0xbf27a4f4, v25, -v60
	v_fma_f32 v97, 0xbf75a155, v27, -v61
	;; [unrolled: 1-line block ×6, first 2 shown]
	v_dual_fmamk_f32 v109, v14, 0xbe11bafb, v74 :: v_dual_add_f32 v104, v4, v104
	v_dual_fmamk_f32 v111, v18, 0xbf75a155, v76 :: v_dual_add_f32 v34, v4, v34
	v_fmamk_f32 v112, v20, 0x3ed4b147, v77
	v_fma_f32 v114, 0xbe11bafb, v25, -v79
	v_fma_f32 v21, 0x3f575c64, v27, -v80
	v_add_f32_e32 v95, v4, v95
	v_add_f32_e32 v115, v4, v6
	;; [unrolled: 1-line block ×3, first 2 shown]
	v_dual_add_f32 v23, v4, v23 :: v_dual_fmac_f32 v70, 0xbf75a155, v25
	v_add_f32_e32 v69, v4, v69
	v_fma_f32 v116, 0xbf75a155, v29, -v81
	v_dual_fmamk_f32 v117, v14, 0x3f575c64, v13 :: v_dual_fmac_f32 v72, 0x3f575c64, v29
	v_fma_f32 v13, 0x3f575c64, v14, -v13
	v_fma_f32 v74, 0xbe11bafb, v14, -v74
	;; [unrolled: 1-line block ×5, first 2 shown]
	v_dual_fmamk_f32 v35, v16, 0xbf27a4f4, v15 :: v_dual_fmac_f32 v42, 0xbf27a4f4, v29
	v_fma_f32 v15, 0xbf27a4f4, v16, -v15
	v_fma_f32 v75, 0x3f575c64, v16, -v75
	v_fma_f32 v66, 0x3ed4b147, v16, -v66
	v_fma_f32 v56, 0xbf75a155, v16, -v56
	v_fma_f32 v16, 0xbe11bafb, v16, -v36
	v_fmamk_f32 v36, v18, 0x3ed4b147, v17
	v_fma_f32 v17, 0x3ed4b147, v18, -v17
	v_fma_f32 v76, 0xbf75a155, v18, -v76
	;; [unrolled: 1-line block ×5, first 2 shown]
	v_dual_fmamk_f32 v37, v20, 0xbe11bafb, v19 :: v_dual_fmac_f32 v62, 0xbe11bafb, v29
	v_fma_f32 v19, 0xbe11bafb, v20, -v19
	v_fma_f32 v77, 0x3ed4b147, v20, -v77
	;; [unrolled: 1-line block ×6, first 2 shown]
	v_fmac_f32_e32 v26, 0x3f575c64, v25
	v_fmac_f32_e32 v79, 0xbe11bafb, v25
	;; [unrolled: 1-line block ×4, first 2 shown]
	v_fma_f32 v25, 0xbf27a4f4, v27, -v28
	v_fmac_f32_e32 v28, 0xbf27a4f4, v27
	v_fmac_f32_e32 v80, 0x3f575c64, v27
	v_add_f32_e32 v39, v4, v39
	v_fmac_f32_e32 v71, 0x3ed4b147, v27
	v_fmac_f32_e32 v61, 0xbf75a155, v27
	v_dual_fmac_f32 v41, 0xbe11bafb, v27 :: v_dual_add_f32 v34, v34, v114
	v_fma_f32 v27, 0x3ed4b147, v29, -v30
	v_fmac_f32_e32 v30, 0x3ed4b147, v29
	v_fmac_f32_e32 v81, 0xbf75a155, v29
	v_mul_f32_e32 v29, 0xbf7d64f0, v32
	v_dual_mul_f32 v32, 0xbf4178ce, v32 :: v_dual_add_f32 v33, v33, v46
	v_fma_f32 v118, 0x3ed4b147, v31, -v82
	v_fmac_f32_e32 v82, 0x3ed4b147, v31
	v_add_f32_e32 v59, v4, v59
	s_delay_alu instid0(VALU_DEP_4)
	v_fma_f32 v119, 0xbf27a4f4, v31, -v32
	v_fmac_f32_e32 v32, 0xbf27a4f4, v31
	v_fma_f32 v120, 0x3f575c64, v31, -v63
	v_dual_fmac_f32 v63, 0x3f575c64, v31 :: v_dual_add_f32 v20, v115, v20
	v_fma_f32 v121, 0xbf75a155, v31, -v44
	v_fmac_f32_e32 v44, 0xbf75a155, v31
	v_add_f32_e32 v46, v86, v87
	v_add_f32_e32 v86, v90, v91
	v_fma_f32 v48, 0xbe11bafb, v31, -v29
	v_fmac_f32_e32 v29, 0xbe11bafb, v31
	v_add_f32_e32 v31, v2, v7
	v_dual_add_f32 v87, v95, v96 :: v_dual_add_f32 v96, v113, v117
	v_dual_add_f32 v90, v99, v100 :: v_dual_add_f32 v91, v104, v105
	;; [unrolled: 1-line block ×5, first 2 shown]
	v_add_f32_e32 v9, v31, v9
	v_add_f32_e32 v31, v50, v52
	v_dual_add_f32 v23, v73, v74 :: v_dual_add_f32 v64, v64, v65
	v_dual_add_f32 v26, v78, v79 :: v_dual_add_f32 v65, v69, v70
	;; [unrolled: 1-line block ×3, first 2 shown]
	v_add_f32_e32 v50, v90, v101
	v_dual_add_f32 v39, v46, v88 :: v_dual_add_f32 v52, v91, v106
	v_add_f32_e32 v40, v86, v92
	v_add_f32_e32 v46, v87, v97
	;; [unrolled: 1-line block ×3, first 2 shown]
	v_dual_add_f32 v21, v34, v21 :: v_dual_add_f32 v34, v96, v35
	v_dual_add_f32 v20, v20, v25 :: v_dual_add_f32 v13, v13, v28
	;; [unrolled: 1-line block ×15, first 2 shown]
	v_add_f32_e32 v46, v59, v111
	v_dual_add_f32 v34, v34, v36 :: v_dual_add_f32 v23, v23, v81
	v_dual_add_f32 v36, v15, v76 :: v_dual_add_f32 v25, v25, v67
	v_dual_add_f32 v26, v26, v72 :: v_dual_add_f32 v35, v35, v62
	v_dual_add_f32 v42, v14, v42 :: v_dual_add_f32 v9, v16, v85
	v_dual_add_f32 v14, v21, v118 :: v_dual_add_f32 v19, v27, v19
	v_add_f32_e32 v16, v20, v48
	v_dual_add_f32 v18, v30, v29 :: v_dual_add_f32 v29, v49, v51
	v_add_f32_e32 v27, v22, v52
	v_add_co_u32 v2, vcc_lo, 0x1000, v0
	v_add_co_ci_u32_e32 v3, vcc_lo, 0, v1, vcc_lo
	s_delay_alu instid0(VALU_DEP_4)
	v_add_f32_e32 v30, v47, v29
	v_dual_add_f32 v21, v36, v77 :: v_dual_add_f32 v20, v23, v82
	v_add_f32_e32 v23, v25, v68
	v_dual_add_f32 v22, v26, v32 :: v_dual_add_f32 v25, v28, v58
	v_dual_add_f32 v28, v24, v27 :: v_dual_add_f32 v27, v50, v38
	v_add_co_u32 v4, vcc_lo, 0x2000, v0
	v_add_co_ci_u32_e32 v5, vcc_lo, 0, v1, vcc_lo
	v_dual_add_f32 v10, v39, v120 :: v_dual_add_f32 v17, v34, v37
	v_add_co_u32 v6, vcc_lo, 0x3000, v0
	v_dual_add_f32 v12, v41, v119 :: v_dual_add_f32 v15, v46, v112
	v_dual_add_f32 v29, v43, v28 :: v_dual_add_f32 v28, v45, v30
	v_add_co_ci_u32_e32 v7, vcc_lo, 0, v1, vcc_lo
	v_dual_add_f32 v8, v31, v121 :: v_dual_add_f32 v13, v40, v103
	v_add_f32_e32 v24, v35, v63
	v_add_f32_e32 v26, v42, v44
	s_clause 0xa
	global_store_b64 v[2:3], v[20:21], off offset:1728
	global_store_b64 v[2:3], v[18:19], off offset:3184
	;; [unrolled: 1-line block ×4, first 2 shown]
	global_store_b64 v[0:1], v[28:29], off
	global_store_b64 v[0:1], v[26:27], off offset:1456
	global_store_b64 v[0:1], v[24:25], off offset:2912
	global_store_b64 v[2:3], v[22:23], off offset:272
	global_store_b64 v[4:5], v[12:13], off offset:3456
	global_store_b64 v[6:7], v[10:11], off offset:816
	global_store_b64 v[6:7], v[8:9], off offset:2272
.LBB0_35:
	s_nop 0
	s_sendmsg sendmsg(MSG_DEALLOC_VGPRS)
	s_endpgm
	.section	.rodata,"a",@progbits
	.p2align	6, 0x0
	.amdhsa_kernel fft_rtc_back_len2002_factors_2_13_7_11_wgs_182_tpt_182_halfLds_sp_ip_CI_unitstride_sbrr_dirReg
		.amdhsa_group_segment_fixed_size 0
		.amdhsa_private_segment_fixed_size 0
		.amdhsa_kernarg_size 88
		.amdhsa_user_sgpr_count 15
		.amdhsa_user_sgpr_dispatch_ptr 0
		.amdhsa_user_sgpr_queue_ptr 0
		.amdhsa_user_sgpr_kernarg_segment_ptr 1
		.amdhsa_user_sgpr_dispatch_id 0
		.amdhsa_user_sgpr_private_segment_size 0
		.amdhsa_wavefront_size32 1
		.amdhsa_uses_dynamic_stack 0
		.amdhsa_enable_private_segment 0
		.amdhsa_system_sgpr_workgroup_id_x 1
		.amdhsa_system_sgpr_workgroup_id_y 0
		.amdhsa_system_sgpr_workgroup_id_z 0
		.amdhsa_system_sgpr_workgroup_info 0
		.amdhsa_system_vgpr_workitem_id 0
		.amdhsa_next_free_vgpr 122
		.amdhsa_next_free_sgpr 21
		.amdhsa_reserve_vcc 1
		.amdhsa_float_round_mode_32 0
		.amdhsa_float_round_mode_16_64 0
		.amdhsa_float_denorm_mode_32 3
		.amdhsa_float_denorm_mode_16_64 3
		.amdhsa_dx10_clamp 1
		.amdhsa_ieee_mode 1
		.amdhsa_fp16_overflow 0
		.amdhsa_workgroup_processor_mode 1
		.amdhsa_memory_ordered 1
		.amdhsa_forward_progress 0
		.amdhsa_shared_vgpr_count 0
		.amdhsa_exception_fp_ieee_invalid_op 0
		.amdhsa_exception_fp_denorm_src 0
		.amdhsa_exception_fp_ieee_div_zero 0
		.amdhsa_exception_fp_ieee_overflow 0
		.amdhsa_exception_fp_ieee_underflow 0
		.amdhsa_exception_fp_ieee_inexact 0
		.amdhsa_exception_int_div_zero 0
	.end_amdhsa_kernel
	.text
.Lfunc_end0:
	.size	fft_rtc_back_len2002_factors_2_13_7_11_wgs_182_tpt_182_halfLds_sp_ip_CI_unitstride_sbrr_dirReg, .Lfunc_end0-fft_rtc_back_len2002_factors_2_13_7_11_wgs_182_tpt_182_halfLds_sp_ip_CI_unitstride_sbrr_dirReg
                                        ; -- End function
	.section	.AMDGPU.csdata,"",@progbits
; Kernel info:
; codeLenInByte = 10576
; NumSgprs: 23
; NumVgprs: 122
; ScratchSize: 0
; MemoryBound: 0
; FloatMode: 240
; IeeeMode: 1
; LDSByteSize: 0 bytes/workgroup (compile time only)
; SGPRBlocks: 2
; VGPRBlocks: 15
; NumSGPRsForWavesPerEU: 23
; NumVGPRsForWavesPerEU: 122
; Occupancy: 10
; WaveLimiterHint : 1
; COMPUTE_PGM_RSRC2:SCRATCH_EN: 0
; COMPUTE_PGM_RSRC2:USER_SGPR: 15
; COMPUTE_PGM_RSRC2:TRAP_HANDLER: 0
; COMPUTE_PGM_RSRC2:TGID_X_EN: 1
; COMPUTE_PGM_RSRC2:TGID_Y_EN: 0
; COMPUTE_PGM_RSRC2:TGID_Z_EN: 0
; COMPUTE_PGM_RSRC2:TIDIG_COMP_CNT: 0
	.text
	.p2alignl 7, 3214868480
	.fill 96, 4, 3214868480
	.type	__hip_cuid_14dc1616a7fc4e1d,@object ; @__hip_cuid_14dc1616a7fc4e1d
	.section	.bss,"aw",@nobits
	.globl	__hip_cuid_14dc1616a7fc4e1d
__hip_cuid_14dc1616a7fc4e1d:
	.byte	0                               ; 0x0
	.size	__hip_cuid_14dc1616a7fc4e1d, 1

	.ident	"AMD clang version 19.0.0git (https://github.com/RadeonOpenCompute/llvm-project roc-6.4.0 25133 c7fe45cf4b819c5991fe208aaa96edf142730f1d)"
	.section	".note.GNU-stack","",@progbits
	.addrsig
	.addrsig_sym __hip_cuid_14dc1616a7fc4e1d
	.amdgpu_metadata
---
amdhsa.kernels:
  - .args:
      - .actual_access:  read_only
        .address_space:  global
        .offset:         0
        .size:           8
        .value_kind:     global_buffer
      - .offset:         8
        .size:           8
        .value_kind:     by_value
      - .actual_access:  read_only
        .address_space:  global
        .offset:         16
        .size:           8
        .value_kind:     global_buffer
      - .actual_access:  read_only
        .address_space:  global
        .offset:         24
        .size:           8
        .value_kind:     global_buffer
      - .offset:         32
        .size:           8
        .value_kind:     by_value
      - .actual_access:  read_only
        .address_space:  global
        .offset:         40
        .size:           8
        .value_kind:     global_buffer
      - .actual_access:  read_only
        .address_space:  global
        .offset:         48
        .size:           8
        .value_kind:     global_buffer
      - .offset:         56
        .size:           4
        .value_kind:     by_value
      - .actual_access:  read_only
        .address_space:  global
        .offset:         64
        .size:           8
        .value_kind:     global_buffer
      - .actual_access:  read_only
        .address_space:  global
        .offset:         72
        .size:           8
        .value_kind:     global_buffer
      - .address_space:  global
        .offset:         80
        .size:           8
        .value_kind:     global_buffer
    .group_segment_fixed_size: 0
    .kernarg_segment_align: 8
    .kernarg_segment_size: 88
    .language:       OpenCL C
    .language_version:
      - 2
      - 0
    .max_flat_workgroup_size: 182
    .name:           fft_rtc_back_len2002_factors_2_13_7_11_wgs_182_tpt_182_halfLds_sp_ip_CI_unitstride_sbrr_dirReg
    .private_segment_fixed_size: 0
    .sgpr_count:     23
    .sgpr_spill_count: 0
    .symbol:         fft_rtc_back_len2002_factors_2_13_7_11_wgs_182_tpt_182_halfLds_sp_ip_CI_unitstride_sbrr_dirReg.kd
    .uniform_work_group_size: 1
    .uses_dynamic_stack: false
    .vgpr_count:     122
    .vgpr_spill_count: 0
    .wavefront_size: 32
    .workgroup_processor_mode: 1
amdhsa.target:   amdgcn-amd-amdhsa--gfx1100
amdhsa.version:
  - 1
  - 2
...

	.end_amdgpu_metadata
